;; amdgpu-corpus repo=ROCm/aiter kind=harvested arch=n/a opt=n/a

/root/src/amdgpu-assembly/repos/ROCm__aiter/hsa/gfx942/fmoe/gelu/fmoe_fp16_pertokenInt8_g1u0_gelu_1tg_32x384.co:	file format elf64-amdgpu

Disassembly of section .text:

0000000000002e00 <_ZN5aiter43fmoe_fp16_pertokenInt8_g1u0_gelu_1tg_32x384E>:
	s_and_b32 s1, s1, 0xffff                                   // 000000002E00: 8601FF01 0000FFFF
	s_load_dwordx2 s[8:9], s[0:1], 0x0                         // 000000002E08: C0060200 00000000
	s_load_dwordx2 s[20:21], s[0:1], 0x10                      // 000000002E10: C0060500 00000010
	s_load_dwordx2 s[24:25], s[0:1], 0x20                      // 000000002E18: C0060600 00000020
	s_load_dwordx2 s[50:51], s[0:1], 0x30                      // 000000002E20: C0060C80 00000030
	s_load_dwordx2 s[12:13], s[0:1], 0x40                      // 000000002E28: C0060300 00000040
	s_load_dwordx2 s[28:29], s[0:1], 0x50                      // 000000002E30: C0060700 00000050
	s_load_dwordx2 s[32:33], s[0:1], 0x60                      // 000000002E38: C0060800 00000060
	s_load_dwordx2 s[16:17], s[0:1], 0x70                      // 000000002E40: C0060400 00000070
	s_load_dwordx2 s[36:37], s[0:1], 0x80                      // 000000002E48: C0060900 00000080
	s_load_dwordx2 s[44:45], s[0:1], 0x90                      // 000000002E50: C0060B00 00000090
	s_load_dwordx2 s[40:41], s[0:1], 0xa0                      // 000000002E58: C0060A00 000000A0
	s_load_dwordx2 s[46:47], s[0:1], 0xb0                      // 000000002E60: C0060B80 000000B0
	s_load_dword s64, s[0:1], 0xc0                             // 000000002E68: C0021000 000000C0
	s_load_dword s65, s[0:1], 0xd0                             // 000000002E70: C0021040 000000D0
	s_load_dword s66, s[0:1], 0xe0                             // 000000002E78: C0021080 000000E0
	s_load_dword s67, s[0:1], 0xf0                             // 000000002E80: C00210C0 000000F0
	s_load_dword s68, s[0:1], 0x100                            // 000000002E88: C0021100 00000100
	s_load_dword s69, s[0:1], 0x110                            // 000000002E90: C0021140 00000110
	s_load_dword s70, s[0:1], 0x120                            // 000000002E98: C0021180 00000120
	s_load_dword s71, s[0:1], 0x130                            // 000000002EA0: C00211C0 00000130
	s_load_dword s72, s[0:1], 0x140                            // 000000002EA8: C0021200 00000140
	s_load_dword s73, s[0:1], 0x150                            // 000000002EB0: C0021240 00000150
	s_load_dword s74, s[0:1], 0x160                            // 000000002EB8: C0021280 00000160
	s_load_dword s75, s[0:1], 0x170                            // 000000002EC0: C00212C0 00000170
	s_load_dword s76, s[0:1], 0x180                            // 000000002EC8: C0021300 00000180
	s_load_dword s63, s[0:1], 0x190                            // 000000002ED0: C0020FC0 00000190
	v_lshrrev_b32_e32 v1, 10, v0                               // 000000002ED8: 2002008A
	v_lshrrev_b32_e32 v2, 10, v1                               // 000000002EDC: 2004028A
	v_and_b32_e32 v2, 0x3ff, v2                                // 000000002EE0: 260404FF 000003FF
	v_and_b32_e32 v1, 0x3ff, v1                                // 000000002EE8: 260202FF 000003FF
	v_and_b32_e32 v0, 0x3ff, v0                                // 000000002EF0: 260000FF 000003FF
	v_lshrrev_b32_e32 v3, 6, v0                                // 000000002EF8: 20060086
	v_and_b32_e32 v0, 63, v0                                   // 000000002EFC: 260000BF
	s_mov_b32 s2, s2                                           // 000000002F00: BE820002
	s_mov_b32 s3, s3                                           // 000000002F04: BE830003
	s_mov_b32 s4, s4                                           // 000000002F08: BE840004
	v_readfirstlane_b32 s7, v3                                 // 000000002F0C: 7E0E0503
	s_waitcnt lgkmcnt(0)                                       // 000000002F10: BF8CC07F
	s_and_b32 s51, s51, 0xffff                                 // 000000002F14: 8633FF33 0000FFFF
	s_load_dword s50, s[50:51], 0x0                            // 000000002F1C: C0020C99 00000000
	s_and_b32 s45, s45, 0xffff                                 // 000000002F24: 862DFF2D 0000FFFF
	s_and_b32 s47, s47, 0xffff                                 // 000000002F2C: 862FFF2F 0000FFFF
	s_and_b32 s9, s9, 0xffff                                   // 000000002F34: 8609FF09 0000FFFF
	s_mul_i32 s60, s66, s68                                    // 000000002F3C: 923C4442
	s_mul_i32 s60, s63, s60                                    // 000000002F40: 923C3C3F
	s_mul_i32 s61, s66, 4                                      // 000000002F44: 923D8442
	s_mul_i32 s61, s63, s61                                    // 000000002F48: 923D3D3F
	s_mov_b32 s22, s60                                         // 000000002F4C: BE96003C
	s_mov_b32 s26, -16                                         // 000000002F50: BE9A00D0
	s_mov_b32 s14, -16                                         // 000000002F54: BE8E00D0
	s_mov_b32 s42, -16                                         // 000000002F58: BEAA00D0
	s_mov_b32 s30, s61                                         // 000000002F5C: BE9E003D
	s_mov_b32 s34, 0x600                                       // 000000002F60: BEA200FF 00000600
	s_mov_b32 s38, 0x600                                       // 000000002F68: BEA600FF 00000600
	s_mov_b32 s18, -16                                         // 000000002F70: BE9200D0
	s_mov_b32 s23, 0x20000                                     // 000000002F74: BE9700FF 00020000
	s_mov_b32 s27, 0x20000                                     // 000000002F7C: BE9B00FF 00020000
	s_mov_b32 s15, 0x20000                                     // 000000002F84: BE8F00FF 00020000
	s_mov_b32 s43, 0x20000                                     // 000000002F8C: BEAB00FF 00020000
	s_mov_b32 s31, 0x20000                                     // 000000002F94: BE9F00FF 00020000
	s_mov_b32 s35, 0x20000                                     // 000000002F9C: BEA300FF 00020000
	s_mov_b32 s39, 0x20000                                     // 000000002FA4: BEA700FF 00020000
	s_mov_b32 s19, 0x20000                                     // 000000002FAC: BE9300FF 00020000
	s_and_b32 s21, s21, 0xffff                                 // 000000002FB4: 8615FF15 0000FFFF
	s_and_b32 s25, s25, 0xffff                                 // 000000002FBC: 8619FF19 0000FFFF
	s_and_b32 s13, s13, 0xffff                                 // 000000002FC4: 860DFF0D 0000FFFF
	s_and_b32 s41, s41, 0xffff                                 // 000000002FCC: 8629FF29 0000FFFF
	s_and_b32 s29, s29, 0xffff                                 // 000000002FD4: 861DFF1D 0000FFFF
	s_and_b32 s33, s33, 0xffff                                 // 000000002FDC: 8621FF21 0000FFFF
	s_and_b32 s37, s37, 0xffff                                 // 000000002FE4: 8625FF25 0000FFFF
	s_and_b32 s17, s17, 0xffff                                 // 000000002FEC: 8611FF11 0000FFFF
	s_or_b32 s21, s21, 0x40000                                 // 000000002FF4: 8715FF15 00040000
	s_or_b32 s25, s25, 0x40000                                 // 000000002FFC: 8719FF19 00040000
	s_or_b32 s13, s13, 0x40000                                 // 000000003004: 870DFF0D 00040000
	s_or_b32 s41, s41, 0x40000                                 // 00000000300C: 8729FF29 00040000
	s_or_b32 s29, s29, 0x40000                                 // 000000003014: 871DFF1D 00040000
	s_or_b32 s33, s33, 0x40000                                 // 00000000301C: 8721FF21 00040000
	s_or_b32 s37, s37, 0x40000                                 // 000000003024: 8725FF25 00040000
	s_or_b32 s17, s17, 0x40000                                 // 00000000302C: 8711FF11 00040000
	v_accvgpr_write_b32 a191, 0                                // 000000003034: D3D940BF 18000080
	v_mov_b32_e32 v239, 0                                      // 00000000303C: 7FDE0280
	s_waitcnt lgkmcnt(0)                                       // 000000003040: BF8CC07F
	s_mul_i32 s60, s3, 32                                      // 000000003044: 923CA003
	s_cmp_lt_i32 s60, s50                                      // 000000003048: BF04323C
	s_cbranch_scc0 label_1D9B                                  // 00000000304C: BF841D07
	s_mov_b32 s80, 0                                           // 000000003050: BED00080
	s_mov_b32 s81, s64                                         // 000000003054: BED10040
	s_mul_i32 s60, s3, 4                                       // 000000003058: 923C8403
	s_add_u32 s46, s60, s46                                    // 00000000305C: 802E2E3C
	s_addc_u32 s47, 0, s47                                     // 000000003060: 822F2F80
	s_load_dword s5, s[46:47], 0x0                             // 000000003064: C0020157 00000000
	s_mul_i32 s60, s3, 32                                      // 00000000306C: 923CA003
	s_mul_i32 s60, 4, s60                                      // 000000003070: 923C3C84
	v_and_b32_e32 v48, 15, v0                                  // 000000003074: 2660008F
	v_lshlrev_b32_e32 v48, 2, v48                              // 000000003078: 24606082
	v_add_u32_e32 v48, s60, v48                                // 00000000307C: 6860603C
	v_mov_b32_e32 v49, 0                                       // 000000003080: 7E620280
	global_load_dword v6, v48, s[44:45]                        // 000000003084: DC508000 062C0030
	v_add_u32_e32 v48, 64, v48                                 // 00000000308C: 686060C0
	global_load_dword v7, v48, s[44:45]                        // 000000003090: DC508000 072C0030
	s_mul_i32 s60, s3, 32                                      // 000000003098: 923CA003
	s_add_u32 s60, s7, s60                                     // 00000000309C: 803C3C07
	s_mul_i32 s60, 4, s60                                      // 0000000030A0: 923C3C84
	s_add_u32 s44, s60, s44                                    // 0000000030A4: 802C2C3C
	s_addc_u32 s45, 0, s45                                     // 0000000030A8: 822D2D80
	s_load_dword s82, s[44:45], 0x0                            // 0000000030AC: C0021496 00000000
	s_load_dword s83, s[44:45], 0x10                           // 0000000030B4: C00214D6 00000010
	s_load_dword s84, s[44:45], 0x20                           // 0000000030BC: C0021516 00000020
	s_load_dword s85, s[44:45], 0x30                           // 0000000030C4: C0021556 00000030
	s_load_dword s86, s[44:45], 0x40                           // 0000000030CC: C0021596 00000040
	s_load_dword s87, s[44:45], 0x50                           // 0000000030D4: C00215D6 00000050
	s_load_dword s88, s[44:45], 0x60                           // 0000000030DC: C0021616 00000060
	s_load_dword s89, s[44:45], 0x70                           // 0000000030E4: C0021656 00000070
	s_waitcnt lgkmcnt(0)                                       // 0000000030EC: BF8CC07F
	v_lshlrev_b32_e32 v48, 2, v0                               // 0000000030F0: 24600082
	s_lshr_b32 s61, s82, 24                                    // 0000000030F4: 8F3D9852
	s_mul_i32 s61, s61, s68                                    // 0000000030F8: 923D443D
	s_mul_i32 s61, s61, s66                                    // 0000000030FC: 923D423D
	s_and_b32 s82, s82, 0xffffff                               // 000000003100: 8652FF52 00FFFFFF
	s_mul_i32 s60, s82, s68                                    // 000000003108: 923C4452
	s_add_u32 s60, s61, s60                                    // 00000000310C: 803C3C3D
	v_add_u32_e64 v26, v48, s60                                // 000000003110: D134001A 00007930
	s_lshr_b32 s61, s83, 24                                    // 000000003118: 8F3D9853
	s_mul_i32 s61, s61, s68                                    // 00000000311C: 923D443D
	s_mul_i32 s61, s61, s66                                    // 000000003120: 923D423D
	s_and_b32 s83, s83, 0xffffff                               // 000000003124: 8653FF53 00FFFFFF
	s_mul_i32 s60, s83, s68                                    // 00000000312C: 923C4453
	s_add_u32 s60, s61, s60                                    // 000000003130: 803C3C3D
	v_add_u32_e64 v27, v48, s60                                // 000000003134: D134001B 00007930
	s_lshr_b32 s61, s84, 24                                    // 00000000313C: 8F3D9854
	s_mul_i32 s61, s61, s68                                    // 000000003140: 923D443D
	s_mul_i32 s61, s61, s66                                    // 000000003144: 923D423D
	s_and_b32 s84, s84, 0xffffff                               // 000000003148: 8654FF54 00FFFFFF
	s_mul_i32 s60, s84, s68                                    // 000000003150: 923C4454
	s_add_u32 s60, s61, s60                                    // 000000003154: 803C3C3D
	v_add_u32_e64 v28, v48, s60                                // 000000003158: D134001C 00007930
	s_lshr_b32 s61, s85, 24                                    // 000000003160: 8F3D9855
	s_mul_i32 s61, s61, s68                                    // 000000003164: 923D443D
	s_mul_i32 s61, s61, s66                                    // 000000003168: 923D423D
	s_and_b32 s85, s85, 0xffffff                               // 00000000316C: 8655FF55 00FFFFFF
	s_mul_i32 s60, s85, s68                                    // 000000003174: 923C4455
	s_add_u32 s60, s61, s60                                    // 000000003178: 803C3C3D
	v_add_u32_e64 v29, v48, s60                                // 00000000317C: D134001D 00007930
	s_lshr_b32 s61, s86, 24                                    // 000000003184: 8F3D9856
	s_mul_i32 s61, s61, s68                                    // 000000003188: 923D443D
	s_mul_i32 s61, s61, s66                                    // 00000000318C: 923D423D
	s_and_b32 s86, s86, 0xffffff                               // 000000003190: 8656FF56 00FFFFFF
	s_mul_i32 s60, s86, s68                                    // 000000003198: 923C4456
	s_add_u32 s60, s61, s60                                    // 00000000319C: 803C3C3D
	v_add_u32_e64 v30, v48, s60                                // 0000000031A0: D134001E 00007930
	s_lshr_b32 s61, s87, 24                                    // 0000000031A8: 8F3D9857
	s_mul_i32 s61, s61, s68                                    // 0000000031AC: 923D443D
	s_mul_i32 s61, s61, s66                                    // 0000000031B0: 923D423D
	s_and_b32 s87, s87, 0xffffff                               // 0000000031B4: 8657FF57 00FFFFFF
	s_mul_i32 s60, s87, s68                                    // 0000000031BC: 923C4457
	s_add_u32 s60, s61, s60                                    // 0000000031C0: 803C3C3D
	v_add_u32_e64 v31, v48, s60                                // 0000000031C4: D134001F 00007930
	s_lshr_b32 s61, s88, 24                                    // 0000000031CC: 8F3D9858
	s_mul_i32 s61, s61, s68                                    // 0000000031D0: 923D443D
	s_mul_i32 s61, s61, s66                                    // 0000000031D4: 923D423D
	s_and_b32 s88, s88, 0xffffff                               // 0000000031D8: 8658FF58 00FFFFFF
	s_mul_i32 s60, s88, s68                                    // 0000000031E0: 923C4458
	s_add_u32 s60, s61, s60                                    // 0000000031E4: 803C3C3D
	v_add_u32_e64 v32, v48, s60                                // 0000000031E8: D1340020 00007930
	s_lshr_b32 s61, s89, 24                                    // 0000000031F0: 8F3D9859
	s_mul_i32 s61, s61, s68                                    // 0000000031F4: 923D443D
	s_mul_i32 s61, s61, s66                                    // 0000000031F8: 923D423D
	s_and_b32 s89, s89, 0xffffff                               // 0000000031FC: 8659FF59 00FFFFFF
	s_mul_i32 s60, s89, s68                                    // 000000003204: 923C4459
	s_add_u32 s60, s61, s60                                    // 000000003208: 803C3C3D
	v_add_u32_e64 v33, v48, s60                                // 00000000320C: D1340021 00007930
	v_lshlrev_b32_e32 v48, 2, v0                               // 000000003214: 24600082
	s_mul_i32 s60, s82, s71                                    // 000000003218: 923C4752
	v_add_u32_e64 v80, v48, s60                                // 00000000321C: D1340050 00007930
	v_mov_b32_e32 v81, 0                                       // 000000003224: 7EA20280
	s_mul_i32 s60, s83, s71                                    // 000000003228: 923C4753
	v_add_u32_e64 v82, v48, s60                                // 00000000322C: D1340052 00007930
	v_mov_b32_e32 v83, 0                                       // 000000003234: 7EA60280
	s_mul_i32 s60, s84, s71                                    // 000000003238: 923C4754
	v_add_u32_e64 v84, v48, s60                                // 00000000323C: D1340054 00007930
	v_mov_b32_e32 v85, 0                                       // 000000003244: 7EAA0280
	s_mul_i32 s60, s85, s71                                    // 000000003248: 923C4755
	v_add_u32_e64 v86, v48, s60                                // 00000000324C: D1340056 00007930
	v_mov_b32_e32 v87, 0                                       // 000000003254: 7EAE0280
	s_mul_i32 s60, s86, s71                                    // 000000003258: 923C4756
	v_add_u32_e64 v88, v48, s60                                // 00000000325C: D1340058 00007930
	v_mov_b32_e32 v89, 0                                       // 000000003264: 7EB20280
	s_mul_i32 s60, s87, s71                                    // 000000003268: 923C4757
	v_add_u32_e64 v90, v48, s60                                // 00000000326C: D134005A 00007930
	v_mov_b32_e32 v91, 0                                       // 000000003274: 7EB60280
	s_mul_i32 s60, s88, s71                                    // 000000003278: 923C4758
	v_add_u32_e64 v92, v48, s60                                // 00000000327C: D134005C 00007930
	v_mov_b32_e32 v93, 0                                       // 000000003284: 7EBA0280
	s_mul_i32 s60, s89, s71                                    // 000000003288: 923C4759
	v_add_u32_e64 v94, v48, s60                                // 00000000328C: D134005E 00007930
	v_mov_b32_e32 v95, 0                                       // 000000003294: 7EBE0280
	s_mul_i32 s60, s7, 0x820                                   // 000000003298: 923CFF07 00000820
	s_add_u32 s50, 0, s60                                      // 0000000032A0: 80323C80
	s_add_u32 s51, 0x2080, s50                                 // 0000000032A4: 803332FF 00002080
	v_lshrrev_b32_e32 v48, 4, v0                               // 0000000032AC: 20600084
	v_lshlrev_b32_e32 v49, 2, v48                              // 0000000032B0: 24626082
	v_and_b32_e32 v48, 15, v0                                  // 0000000032B4: 2660008F
	v_lshrrev_b32_e32 v50, 2, v48                              // 0000000032B8: 20646082
	v_lshlrev_b32_e32 v50, 6, v50                              // 0000000032BC: 24646486
	v_add_u32_e32 v49, v50, v49                                // 0000000032C0: 68626332
	v_and_b32_e32 v48, 3, v0                                   // 0000000032C4: 26600083
	v_mul_i32_i24_e32 v50, 0x208, v48                          // 0000000032C8: 0C6460FF 00000208
	v_add_u32_e32 v49, v50, v49                                // 0000000032D0: 68626332
	v_lshlrev_b32_e32 v2, 2, v49                               // 0000000032D4: 24046282
	s_mul_i32 s60, s2, 0x180                                   // 0000000032D8: 923CFF02 00000180
	s_mul_i32 s60, s60, s69                                    // 0000000032E0: 923C453C
	s_mul_i32 s61, s5, s72                                     // 0000000032E4: 923D4805
	s_add_u32 s60, s61, s60                                    // 0000000032E8: 803C3C3D
	s_add_u32 s24, s60, s24                                    // 0000000032EC: 8018183C
	s_addc_u32 s25, 0, s25                                     // 0000000032F0: 82191980
	s_mul_i32 s60, s7, 16                                      // 0000000032F4: 923C9007
	s_mul_i32 s60, s60, s69                                    // 0000000032F8: 923C453C
	v_lshlrev_b32_e32 v34, 4, v0                               // 0000000032FC: 24440084
	v_add_u32_e32 v34, s60, v34                                // 000000003300: 6844443C
	s_mul_i32 s60, 64, s69                                     // 000000003304: 923C45C0
	v_add_u32_e32 v35, s60, v34                                // 000000003308: 6846443C
	v_add_u32_e32 v36, s60, v35                                // 00000000330C: 6848463C
	v_add_u32_e32 v37, s60, v36                                // 000000003310: 684A483C
	v_add_u32_e32 v38, s60, v37                                // 000000003314: 684C4A3C
	v_add_u32_e32 v39, s60, v38                                // 000000003318: 684E4C3C
	s_mul_i32 s60, s2, 0x1800                                  // 00000000331C: 923CFF02 00001800
	s_mul_i32 s61, s5, s73                                     // 000000003324: 923D4905
	s_add_u32 s60, s61, s60                                    // 000000003328: 803C3C3D
	s_add_u32 s12, s60, s12                                    // 00000000332C: 800C0C3C
	s_addc_u32 s13, 0, s13                                     // 000000003330: 820D0D80
	s_mul_i32 s60, s7, 16                                      // 000000003334: 923C9007
	s_mul_i32 s60, s60, s70                                    // 000000003338: 923C463C
	v_lshlrev_b32_e32 v40, 4, v0                               // 00000000333C: 24500084
	v_add_u32_e32 v40, s60, v40                                // 000000003340: 6850503C
	s_mul_i32 s60, 64, s70                                     // 000000003344: 923C46C0
	v_add_u32_e32 v41, s60, v40                                // 000000003348: 6852503C
	v_add_u32_e32 v42, s60, v41                                // 00000000334C: 6854523C
	v_add_u32_e32 v43, s60, v42                                // 000000003350: 6856543C
	s_mul_i32 s60, s3, 32                                      // 000000003354: 923CA003
	s_mul_i32 s60, 4, s60                                      // 000000003358: 923C3C84
	s_add_u32 s40, s60, s40                                    // 00000000335C: 8028283C
	s_addc_u32 s41, 0, s41                                     // 000000003360: 82292980
	v_and_b32_e32 v48, 15, v0                                  // 000000003364: 2660008F
	v_lshlrev_b32_e32 v8, 2, v48                               // 000000003368: 24106082
	v_add_u32_e32 v9, 64, v8                                   // 00000000336C: 681210C0
	v_lshrrev_b32_e32 v48, 4, v0                               // 000000003370: 20600084
	v_lshlrev_b32_e32 v49, 2, v48                              // 000000003374: 24626082
	v_and_b32_e32 v48, 15, v0                                  // 000000003378: 2660008F
	v_lshrrev_b32_e32 v50, 2, v48                              // 00000000337C: 20646082
	v_lshlrev_b32_e32 v50, 6, v50                              // 000000003380: 24646486
	v_add_u32_e32 v49, v50, v49                                // 000000003384: 68626332
	v_and_b32_e32 v48, 3, v0                                   // 000000003388: 26600083
	v_add_u32_e32 v49, v48, v49                                // 00000000338C: 68626330
	v_lshlrev_b32_e32 v10, 2, v49                              // 000000003390: 24146282
	v_add_u32_e32 v11, 0x400, v10                              // 000000003394: 681614FF 00000400
	s_mul_i32 s60, s7, 16                                      // 00000000339C: 923C9007
	s_mul_i32 s60, s60, 4                                      // 0000000033A0: 923C843C
	v_add_u32_e32 v10, s60, v10                                // 0000000033A4: 6814143C
	v_add_u32_e32 v11, s60, v11                                // 0000000033A8: 6816163C
	v_mov_b32_e32 v5, v10                                      // 0000000033AC: 7E0A030A
	s_mul_i32 s60, s2, 0x180                                   // 0000000033B0: 923CFF02 00000180
	s_mul_i32 s60, s60, 4                                      // 0000000033B8: 923C843C
	s_mul_i32 s61, s5, s74                                     // 0000000033BC: 923D4A05
	s_add_u32 s61, s61, s60                                    // 0000000033C0: 803D3C3D
	s_mul_i32 s62, s5, s76                                     // 0000000033C4: 923E4C05
	s_add_u32 s62, s62, s60                                    // 0000000033C8: 803E3C3E
	s_add_u32 s32, s61, s32                                    // 0000000033CC: 8020203D
	s_addc_u32 s33, 0, s33                                     // 0000000033D0: 82212180
	s_add_u32 s36, s62, s36                                    // 0000000033D4: 8024243E
	s_addc_u32 s37, 0, s37                                     // 0000000033D8: 82252580
	s_mul_i32 s60, s5, s75                                     // 0000000033DC: 923C4B05
	s_add_u32 s16, s60, s16                                    // 0000000033E0: 8010103C
	s_addc_u32 s17, 0, s17                                     // 0000000033E4: 82111180
	s_mov_b32 s57, 0x100                                       // 0000000033E8: BEB900FF 00000100
	s_mov_b32 s58, 0x1000                                      // 0000000033F0: BEBA00FF 00001000
	s_mov_b32 s79, 0x400                                       // 0000000033F8: BECF00FF 00000400
	s_mov_b32 s59, 0x200                                       // 000000003400: BEBB00FF 00000200
	s_mul_i32 s60, s70, 0x100                                  // 000000003408: 923CFF46 00000100
	s_mov_b32 s78, 0x400                                       // 000000003410: BECE00FF 00000400
	s_mul_i32 s61, s78, 5                                      // 000000003418: 923D854E
	s_sub_u32 s56, s60, s61                                    // 00000000341C: 80B83D3C
	s_mov_b32 s52, 0x7060302                                   // 000000003420: BEB400FF 07060302
	s_mov_b32 s53, 0x400                                       // 000000003428: BEB500FF 00000400
	s_mov_b32 s54, 0x40100                                     // 000000003430: BEB600FF 00040100
	s_mov_b32 s55, 0x4020100                                   // 000000003438: BEB700FF 04020100
	s_mov_b32 s6, 0x3fb8aa3b                                   // 000000003440: BE8600FF 3FB8AA3B
	s_mov_b32 s77, 0xbd92220c                                  // 000000003448: BECD00FF BD92220C
	s_mov_b32 m0, s50                                          // 000000003450: BEFC0032
	v_mov_b32_e32 v1, 0xbfcc4231                               // 000000003454: 7E0202FF BFCC4231
	v_mov_b32_e32 v45, 0xffff0000                              // 00000000345C: 7E5A02FF FFFF0000
	v_mov_b32_e32 v46, 0x7fff0000                              // 000000003464: 7E5C02FF 7FFF0000
	v_mov_b32_e32 v47, 0x7fff                                  // 00000000346C: 7E5E02FF 00007FFF
	s_waitcnt vmcnt(0) expcnt(0) lgkmcnt(0)                    // 000000003474: BF8C0000
	v_lshrrev_b32_e32 v48, 24, v6                              // 000000003478: 20600C98
	v_mul_i32_i24_e32 v48, s66, v48                            // 00000000347C: 0C606042
	v_and_b32_e32 v49, 0xffffff, v6                            // 000000003480: 26620CFF 00FFFFFF
	v_add_u32_e32 v6, v48, v49                                 // 000000003488: 680C6330
	v_lshrrev_b32_e32 v48, 24, v7                              // 00000000348C: 20600E98
	v_mul_i32_i24_e32 v48, s66, v48                            // 000000003490: 0C606042
	v_and_b32_e32 v49, 0xffffff, v7                            // 000000003494: 26620EFF 00FFFFFF
	v_add_u32_e32 v7, v48, v49                                 // 00000000349C: 680E6330
	v_lshlrev_b32_e32 v6, 2, v6                                // 0000000034A0: 240C0C82
	v_lshlrev_b32_e32 v7, 2, v7                                // 0000000034A4: 240E0E82
	buffer_load_dword v14, v6, s[28:31], 0 offen               // 0000000034A8: E0501000 80070E06
	buffer_load_dword v15, v7, s[28:31], 0 offen               // 0000000034B0: E0501000 80070F07
	buffer_load_dword v16, v10, s[32:35], 0 offen              // 0000000034B8: E0501000 8008100A
	buffer_load_dword v17, v11, s[32:35], 0 offen              // 0000000034C0: E0501000 8008110B
	buffer_load_dword v18, v10, s[36:39], 0 offen              // 0000000034C8: E0501000 8009120A
	buffer_load_dword v19, v11, s[36:39], 0 offen              // 0000000034D0: E0501000 8009130B
	buffer_load_dword v20, v8, s[40:43], 0 offen               // 0000000034D8: E0501000 800A1408
	buffer_load_dword v21, v9, s[40:43], 0 offen               // 0000000034E0: E0501000 800A1509
	buffer_load_dword v26, s[20:23], 0 offen lds               // 0000000034E8: E0511000 8005001A
	s_add_u32 m0, 0x100, s50                                   // 0000000034F0: 807C32FF 00000100
	buffer_load_dword v27, s[20:23], 0 offen lds               // 0000000034F8: E0511000 8005001B
	s_add_u32 m0, 0x200, s50                                   // 000000003500: 807C32FF 00000200
	buffer_load_dword v28, s[20:23], 0 offen lds               // 000000003508: E0511000 8005001C
	s_add_u32 m0, 0x300, s50                                   // 000000003510: 807C32FF 00000300
	buffer_load_dword v29, s[20:23], 0 offen lds               // 000000003518: E0511000 8005001D
	s_add_u32 m0, 0x400, s50                                   // 000000003520: 807C32FF 00000400
	buffer_load_dword v30, s[20:23], 0 offen lds               // 000000003528: E0511000 8005001E
	s_add_u32 m0, 0x500, s50                                   // 000000003530: 807C32FF 00000500
	buffer_load_dword v31, s[20:23], 0 offen lds               // 000000003538: E0511000 8005001F
	s_add_u32 m0, 0x600, s50                                   // 000000003540: 807C32FF 00000600
	buffer_load_dword v32, s[20:23], 0 offen lds               // 000000003548: E0511000 80050020
	s_add_u32 m0, 0x700, s50                                   // 000000003550: 807C32FF 00000700
	buffer_load_dword v33, s[20:23], 0 offen lds               // 000000003558: E0511000 80050021
	s_add_u32 m0, 0, s51                                       // 000000003560: 807C3380
	s_add_u32 s20, s57, s20                                    // 000000003564: 80141439
	s_addc_u32 s21, 0, s21                                     // 000000003568: 82151580
	buffer_load_dword v26, s[20:23], 0 offen lds               // 00000000356C: E0511000 8005001A
	s_add_u32 m0, 0x100, s51                                   // 000000003574: 807C33FF 00000100
	buffer_load_dword v27, s[20:23], 0 offen lds               // 00000000357C: E0511000 8005001B
	s_add_u32 m0, 0x200, s51                                   // 000000003584: 807C33FF 00000200
	buffer_load_dword v28, s[20:23], 0 offen lds               // 00000000358C: E0511000 8005001C
	s_add_u32 m0, 0x300, s51                                   // 000000003594: 807C33FF 00000300
	buffer_load_dword v29, s[20:23], 0 offen lds               // 00000000359C: E0511000 8005001D
	s_add_u32 m0, 0x400, s51                                   // 0000000035A4: 807C33FF 00000400
	buffer_load_dword v30, s[20:23], 0 offen lds               // 0000000035AC: E0511000 8005001E
	s_add_u32 m0, 0x500, s51                                   // 0000000035B4: 807C33FF 00000500
	buffer_load_dword v31, s[20:23], 0 offen lds               // 0000000035BC: E0511000 8005001F
	s_add_u32 m0, 0x600, s51                                   // 0000000035C4: 807C33FF 00000600
	buffer_load_dword v32, s[20:23], 0 offen lds               // 0000000035CC: E0511000 80050020
	s_add_u32 m0, 0x700, s51                                   // 0000000035D4: 807C33FF 00000700
	buffer_load_dword v33, s[20:23], 0 offen lds               // 0000000035DC: E0511000 80050021
	s_add_u32 m0, 0, s50                                       // 0000000035E4: 807C3280
	s_add_u32 s20, s57, s20                                    // 0000000035E8: 80141439
	s_addc_u32 s21, 0, s21                                     // 0000000035EC: 82151580
	buffer_load_dwordx4 a[0:3], v34, s[24:27], 0 offen         // 0000000035F0: E05C1000 80860022
	buffer_load_dwordx4 a[4:7], v34, s[24:27], 0 offen offset:1024// 0000000035F8: E05C1400 80860422
	buffer_load_dwordx4 a[8:11], v34, s[24:27], 0 offen offset:2048// 000000003600: E05C1800 80860822
	buffer_load_dwordx4 a[12:15], v34, s[24:27], 0 offen offset:3072// 000000003608: E05C1C00 80860C22
	buffer_load_dwordx4 a[16:19], v35, s[24:27], 0 offen       // 000000003610: E05C1000 80861023
	buffer_load_dwordx4 a[20:23], v35, s[24:27], 0 offen offset:1024// 000000003618: E05C1400 80861423
	buffer_load_dwordx4 a[24:27], v35, s[24:27], 0 offen offset:2048// 000000003620: E05C1800 80861823
	buffer_load_dwordx4 a[28:31], v35, s[24:27], 0 offen offset:3072// 000000003628: E05C1C00 80861C23
	buffer_load_dwordx4 a[32:35], v36, s[24:27], 0 offen       // 000000003630: E05C1000 80862024
	buffer_load_dwordx4 a[36:39], v36, s[24:27], 0 offen offset:1024// 000000003638: E05C1400 80862424
	buffer_load_dwordx4 a[40:43], v36, s[24:27], 0 offen offset:2048// 000000003640: E05C1800 80862824
	buffer_load_dwordx4 a[44:47], v36, s[24:27], 0 offen offset:3072// 000000003648: E05C1C00 80862C24
	buffer_load_dwordx4 a[48:51], v37, s[24:27], 0 offen       // 000000003650: E05C1000 80863025
	buffer_load_dwordx4 a[52:55], v37, s[24:27], 0 offen offset:1024// 000000003658: E05C1400 80863425
	buffer_load_dwordx4 a[56:59], v37, s[24:27], 0 offen offset:2048// 000000003660: E05C1800 80863825
	buffer_load_dwordx4 a[60:63], v37, s[24:27], 0 offen offset:3072// 000000003668: E05C1C00 80863C25
	buffer_load_dwordx4 a[64:67], v38, s[24:27], 0 offen       // 000000003670: E05C1000 80864026
	buffer_load_dwordx4 a[68:71], v38, s[24:27], 0 offen offset:1024// 000000003678: E05C1400 80864426
	buffer_load_dwordx4 a[72:75], v38, s[24:27], 0 offen offset:2048// 000000003680: E05C1800 80864826
	buffer_load_dwordx4 a[76:79], v38, s[24:27], 0 offen offset:3072// 000000003688: E05C1C00 80864C26
	buffer_load_dwordx4 a[80:83], v39, s[24:27], 0 offen       // 000000003690: E05C1000 80865027
	buffer_load_dwordx4 a[84:87], v39, s[24:27], 0 offen offset:1024// 000000003698: E05C1400 80865427
	buffer_load_dwordx4 a[88:91], v39, s[24:27], 0 offen offset:2048// 0000000036A0: E05C1800 80865827
	buffer_load_dwordx4 a[92:95], v39, s[24:27], 0 offen offset:3072// 0000000036A8: E05C1C00 80865C27
	s_add_u32 s24, s58, s24                                    // 0000000036B0: 8018183A
	s_addc_u32 s25, 0, s25                                     // 0000000036B4: 82191980
	v_mov_b32_e32 v128, 0                                      // 0000000036B8: 7F000280
	v_mov_b32_e32 v129, 0                                      // 0000000036BC: 7F020280
	v_mov_b32_e32 v130, 0                                      // 0000000036C0: 7F040280
	v_mov_b32_e32 v131, 0                                      // 0000000036C4: 7F060280
	v_mov_b32_e32 v132, 0                                      // 0000000036C8: 7F080280
	v_mov_b32_e32 v133, 0                                      // 0000000036CC: 7F0A0280
	v_mov_b32_e32 v134, 0                                      // 0000000036D0: 7F0C0280
	v_mov_b32_e32 v135, 0                                      // 0000000036D4: 7F0E0280
	v_mov_b32_e32 v136, 0                                      // 0000000036D8: 7F100280
	v_mov_b32_e32 v137, 0                                      // 0000000036DC: 7F120280
	v_mov_b32_e32 v138, 0                                      // 0000000036E0: 7F140280
	v_mov_b32_e32 v139, 0                                      // 0000000036E4: 7F160280
	v_mov_b32_e32 v140, 0                                      // 0000000036E8: 7F180280
	v_mov_b32_e32 v141, 0                                      // 0000000036EC: 7F1A0280
	v_mov_b32_e32 v142, 0                                      // 0000000036F0: 7F1C0280
	v_mov_b32_e32 v143, 0                                      // 0000000036F4: 7F1E0280
	v_mov_b32_e32 v144, 0                                      // 0000000036F8: 7F200280
	v_mov_b32_e32 v145, 0                                      // 0000000036FC: 7F220280
	v_mov_b32_e32 v146, 0                                      // 000000003700: 7F240280
	v_mov_b32_e32 v147, 0                                      // 000000003704: 7F260280
	v_mov_b32_e32 v148, 0                                      // 000000003708: 7F280280
	v_mov_b32_e32 v149, 0                                      // 00000000370C: 7F2A0280
	v_mov_b32_e32 v150, 0                                      // 000000003710: 7F2C0280
	v_mov_b32_e32 v151, 0                                      // 000000003714: 7F2E0280
	v_mov_b32_e32 v152, 0                                      // 000000003718: 7F300280
	v_mov_b32_e32 v153, 0                                      // 00000000371C: 7F320280
	v_mov_b32_e32 v154, 0                                      // 000000003720: 7F340280
	v_mov_b32_e32 v155, 0                                      // 000000003724: 7F360280
	v_mov_b32_e32 v156, 0                                      // 000000003728: 7F380280
	v_mov_b32_e32 v157, 0                                      // 00000000372C: 7F3A0280
	v_mov_b32_e32 v158, 0                                      // 000000003730: 7F3C0280
	v_mov_b32_e32 v159, 0                                      // 000000003734: 7F3E0280
	v_mov_b32_e32 v160, 0                                      // 000000003738: 7F400280
	v_mov_b32_e32 v161, 0                                      // 00000000373C: 7F420280
	v_mov_b32_e32 v162, 0                                      // 000000003740: 7F440280
	v_mov_b32_e32 v163, 0                                      // 000000003744: 7F460280
	v_mov_b32_e32 v164, 0                                      // 000000003748: 7F480280
	v_mov_b32_e32 v165, 0                                      // 00000000374C: 7F4A0280
	v_mov_b32_e32 v166, 0                                      // 000000003750: 7F4C0280
	v_mov_b32_e32 v167, 0                                      // 000000003754: 7F4E0280
	v_mov_b32_e32 v168, 0                                      // 000000003758: 7F500280
	v_mov_b32_e32 v169, 0                                      // 00000000375C: 7F520280
	v_mov_b32_e32 v170, 0                                      // 000000003760: 7F540280
	v_mov_b32_e32 v171, 0                                      // 000000003764: 7F560280
	v_mov_b32_e32 v172, 0                                      // 000000003768: 7F580280
	v_mov_b32_e32 v173, 0                                      // 00000000376C: 7F5A0280
	v_mov_b32_e32 v174, 0                                      // 000000003770: 7F5C0280
	v_mov_b32_e32 v175, 0                                      // 000000003774: 7F5E0280
	v_lshrrev_b32_e32 v48, 4, v0                               // 000000003778: 20600084
	v_mul_i32_i24_e32 v3, 34, v48                              // 00000000377C: 0C0660A2
	v_and_b32_e32 v48, 15, v0                                  // 000000003780: 2660008F
	v_mul_i32_i24_e32 v49, 2, v48                              // 000000003784: 0C626082
	v_add_u32_e32 v3, v49, v3                                  // 000000003788: 68060731
	s_mul_i32 s60, s7, 0x88                                    // 00000000378C: 923CFF07 00000088
	v_add_u32_e32 v3, s60, v3                                  // 000000003794: 6806063C
	v_lshlrev_b32_e32 v3, 2, v3                                // 000000003798: 24060682
	v_lshrrev_b32_e32 v48, 1, v0                               // 00000000379C: 20600081
	v_mul_i32_i24_e32 v4, 34, v48                              // 0000000037A0: 0C0860A2
	v_and_b32_e32 v49, 1, v0                                   // 0000000037A4: 26620081
	v_add_u32_e32 v4, v49, v4                                  // 0000000037A8: 68080931
	s_mul_i32 s60, s7, 2                                       // 0000000037AC: 923C8207
	v_add_u32_e32 v4, s60, v4                                  // 0000000037B0: 6808083C
	v_lshlrev_b32_e32 v4, 2, v4                                // 0000000037B4: 24080882
	s_waitcnt vmcnt(32)                                        // 0000000037B8: BF8C8F70
	s_barrier                                                  // 0000000037BC: BF8A0000
	ds_read_b128 v[176:179], v2                                // 0000000037C0: D9FE0000 B0000002
	ds_read_b128 v[180:183], v2 offset:64                      // 0000000037C8: D9FE0040 B4000002
	ds_read_b128 v[184:187], v2 offset:128                     // 0000000037D0: D9FE0080 B8000002
	ds_read_b128 v[188:191], v2 offset:192                     // 0000000037D8: D9FE00C0 BC000002
	ds_read_b128 v[192:195], v2 offset:1024                    // 0000000037E0: D9FE0400 C0000002
	ds_read_b128 v[196:199], v2 offset:1088                    // 0000000037E8: D9FE0440 C4000002
	ds_read_b128 v[200:203], v2 offset:1152                    // 0000000037F0: D9FE0480 C8000002
	ds_read_b128 v[204:207], v2 offset:1216                    // 0000000037F8: D9FE04C0 CC000002
	s_cmp_lt_i32 s7, 2                                         // 000000003800: BF048207
	s_cbranch_scc0 label_1010                                  // 000000003804: BF840D8E

0000000000003808 <label_0282>:
	s_waitcnt vmcnt(16) lgkmcnt(0)                             // 000000003808: BF8C4070
	s_barrier                                                  // 00000000380C: BF8A0000
	v_mfma_i32_16x16x32_i8 v[128:131], a[0:1], v[176:177], v[128:131]// 000000003810: D3D70080 0E036100
	v_mfma_i32_16x16x32_i8 v[128:131], a[2:3], v[178:179], v[128:131]// 000000003818: D3D70080 0E036502
	buffer_load_dwordx4 a[96:99], v34, s[24:27], 0 offen       // 000000003820: E05C1000 80866022
	v_mfma_i32_16x16x32_i8 v[128:131], a[4:5], v[180:181], v[128:131]// 000000003828: D3D70080 0E036904
	v_mfma_i32_16x16x32_i8 v[128:131], a[6:7], v[182:183], v[128:131]// 000000003830: D3D70080 0E036D06
	buffer_load_dword v26, s[20:23], 0 offen lds               // 000000003838: E0511000 8005001A
	s_add_u32 m0, 0x100, s50                                   // 000000003840: 807C32FF 00000100
	v_mfma_i32_16x16x32_i8 v[128:131], a[8:9], v[184:185], v[128:131]// 000000003848: D3D70080 0E037108
	v_mfma_i32_16x16x32_i8 v[128:131], a[10:11], v[186:187], v[128:131]// 000000003850: D3D70080 0E03750A
	buffer_load_dwordx4 a[100:103], v34, s[24:27], 0 offen offset:1024// 000000003858: E05C1400 80866422
	v_mfma_i32_16x16x32_i8 v[128:131], a[12:13], v[188:189], v[128:131]// 000000003860: D3D70080 0E03790C
	v_mfma_i32_16x16x32_i8 v[128:131], a[14:15], v[190:191], v[128:131]// 000000003868: D3D70080 0E037D0E
	buffer_load_dword v27, s[20:23], 0 offen lds               // 000000003870: E0511000 8005001B
	s_add_u32 m0, 0x200, s50                                   // 000000003878: 807C32FF 00000200
	v_mfma_i32_16x16x32_i8 v[132:135], a[0:1], v[192:193], v[132:135]// 000000003880: D3D70084 0E138100
	v_mfma_i32_16x16x32_i8 v[132:135], a[2:3], v[194:195], v[132:135]// 000000003888: D3D70084 0E138502
	buffer_load_dwordx4 a[104:107], v34, s[24:27], 0 offen offset:2048// 000000003890: E05C1800 80866822
	v_mfma_i32_16x16x32_i8 v[132:135], a[4:5], v[196:197], v[132:135]// 000000003898: D3D70084 0E138904
	v_mfma_i32_16x16x32_i8 v[132:135], a[6:7], v[198:199], v[132:135]// 0000000038A0: D3D70084 0E138D06
	buffer_load_dword v28, s[20:23], 0 offen lds               // 0000000038A8: E0511000 8005001C
	s_add_u32 m0, 0x300, s50                                   // 0000000038B0: 807C32FF 00000300
	v_mfma_i32_16x16x32_i8 v[132:135], a[8:9], v[200:201], v[132:135]// 0000000038B8: D3D70084 0E139108
	v_mfma_i32_16x16x32_i8 v[132:135], a[10:11], v[202:203], v[132:135]// 0000000038C0: D3D70084 0E13950A
	buffer_load_dwordx4 a[108:111], v34, s[24:27], 0 offen offset:3072// 0000000038C8: E05C1C00 80866C22
	v_mfma_i32_16x16x32_i8 v[132:135], a[12:13], v[204:205], v[132:135]// 0000000038D0: D3D70084 0E13990C
	v_mfma_i32_16x16x32_i8 v[132:135], a[14:15], v[206:207], v[132:135]// 0000000038D8: D3D70084 0E139D0E
	buffer_load_dword v29, s[20:23], 0 offen lds               // 0000000038E0: E0511000 8005001D
	s_add_u32 m0, 0x400, s50                                   // 0000000038E8: 807C32FF 00000400
	v_mfma_i32_16x16x32_i8 v[136:139], a[16:17], v[176:177], v[136:139]// 0000000038F0: D3D70088 0E236110
	v_mfma_i32_16x16x32_i8 v[136:139], a[18:19], v[178:179], v[136:139]// 0000000038F8: D3D70088 0E236512
	buffer_load_dwordx4 a[112:115], v35, s[24:27], 0 offen     // 000000003900: E05C1000 80867023
	v_mfma_i32_16x16x32_i8 v[136:139], a[20:21], v[180:181], v[136:139]// 000000003908: D3D70088 0E236914
	v_mfma_i32_16x16x32_i8 v[136:139], a[22:23], v[182:183], v[136:139]// 000000003910: D3D70088 0E236D16
	buffer_load_dword v30, s[20:23], 0 offen lds               // 000000003918: E0511000 8005001E
	s_add_u32 m0, 0x500, s50                                   // 000000003920: 807C32FF 00000500
	v_mfma_i32_16x16x32_i8 v[136:139], a[24:25], v[184:185], v[136:139]// 000000003928: D3D70088 0E237118
	v_mfma_i32_16x16x32_i8 v[136:139], a[26:27], v[186:187], v[136:139]// 000000003930: D3D70088 0E23751A
	buffer_load_dwordx4 a[116:119], v35, s[24:27], 0 offen offset:1024// 000000003938: E05C1400 80867423
	v_mfma_i32_16x16x32_i8 v[136:139], a[28:29], v[188:189], v[136:139]// 000000003940: D3D70088 0E23791C
	v_mfma_i32_16x16x32_i8 v[136:139], a[30:31], v[190:191], v[136:139]// 000000003948: D3D70088 0E237D1E
	buffer_load_dword v31, s[20:23], 0 offen lds               // 000000003950: E0511000 8005001F
	s_add_u32 m0, 0x600, s50                                   // 000000003958: 807C32FF 00000600
	v_mfma_i32_16x16x32_i8 v[140:143], a[16:17], v[192:193], v[140:143]// 000000003960: D3D7008C 0E338110
	v_mfma_i32_16x16x32_i8 v[140:143], a[18:19], v[194:195], v[140:143]// 000000003968: D3D7008C 0E338512
	buffer_load_dwordx4 a[120:123], v35, s[24:27], 0 offen offset:2048// 000000003970: E05C1800 80867823
	v_mfma_i32_16x16x32_i8 v[140:143], a[20:21], v[196:197], v[140:143]// 000000003978: D3D7008C 0E338914
	v_mfma_i32_16x16x32_i8 v[140:143], a[22:23], v[198:199], v[140:143]// 000000003980: D3D7008C 0E338D16
	buffer_load_dword v32, s[20:23], 0 offen lds               // 000000003988: E0511000 80050020
	s_add_u32 m0, 0x700, s50                                   // 000000003990: 807C32FF 00000700
	v_mfma_i32_16x16x32_i8 v[140:143], a[24:25], v[200:201], v[140:143]// 000000003998: D3D7008C 0E339118
	v_mfma_i32_16x16x32_i8 v[140:143], a[26:27], v[202:203], v[140:143]// 0000000039A0: D3D7008C 0E33951A
	buffer_load_dwordx4 a[124:127], v35, s[24:27], 0 offen offset:3072// 0000000039A8: E05C1C00 80867C23
	v_mfma_i32_16x16x32_i8 v[140:143], a[28:29], v[204:205], v[140:143]// 0000000039B0: D3D7008C 0E33991C
	v_mfma_i32_16x16x32_i8 v[140:143], a[30:31], v[206:207], v[140:143]// 0000000039B8: D3D7008C 0E339D1E
	buffer_load_dword v33, s[20:23], 0 offen lds               // 0000000039C0: E0511000 80050021
	s_add_u32 m0, 0, s51                                       // 0000000039C8: 807C3380
	s_waitcnt vmcnt(28)                                        // 0000000039CC: BF8C4F7C
	v_mfma_i32_16x16x32_i8 v[144:147], a[32:33], v[176:177], v[144:147]// 0000000039D0: D3D70090 0E436120
	v_mfma_i32_16x16x32_i8 v[144:147], a[34:35], v[178:179], v[144:147]// 0000000039D8: D3D70090 0E436522
	buffer_load_dwordx4 a[128:131], v36, s[24:27], 0 offen     // 0000000039E0: E05C1000 80868024
	v_mfma_i32_16x16x32_i8 v[144:147], a[36:37], v[180:181], v[144:147]// 0000000039E8: D3D70090 0E436924
	v_mfma_i32_16x16x32_i8 v[144:147], a[38:39], v[182:183], v[144:147]// 0000000039F0: D3D70090 0E436D26
	ds_read_b128 v[208:211], v2 offset:8320                    // 0000000039F8: D9FE2080 D0000002
	v_mfma_i32_16x16x32_i8 v[144:147], a[40:41], v[184:185], v[144:147]// 000000003A00: D3D70090 0E437128
	v_mfma_i32_16x16x32_i8 v[144:147], a[42:43], v[186:187], v[144:147]// 000000003A08: D3D70090 0E43752A
	buffer_load_dwordx4 a[132:135], v36, s[24:27], 0 offen offset:1024// 000000003A10: E05C1400 80868424
	v_mfma_i32_16x16x32_i8 v[144:147], a[44:45], v[188:189], v[144:147]// 000000003A18: D3D70090 0E43792C
	v_mfma_i32_16x16x32_i8 v[144:147], a[46:47], v[190:191], v[144:147]// 000000003A20: D3D70090 0E437D2E
	ds_read_b128 v[212:215], v2 offset:8384                    // 000000003A28: D9FE20C0 D4000002
	v_mfma_i32_16x16x32_i8 v[148:151], a[32:33], v[192:193], v[148:151]// 000000003A30: D3D70094 0E538120
	v_mfma_i32_16x16x32_i8 v[148:151], a[34:35], v[194:195], v[148:151]// 000000003A38: D3D70094 0E538522
	buffer_load_dwordx4 a[136:139], v36, s[24:27], 0 offen offset:2048// 000000003A40: E05C1800 80868824
	v_mfma_i32_16x16x32_i8 v[148:151], a[36:37], v[196:197], v[148:151]// 000000003A48: D3D70094 0E538924
	v_mfma_i32_16x16x32_i8 v[148:151], a[38:39], v[198:199], v[148:151]// 000000003A50: D3D70094 0E538D26
	ds_read_b128 v[216:219], v2 offset:8448                    // 000000003A58: D9FE2100 D8000002
	v_mfma_i32_16x16x32_i8 v[148:151], a[40:41], v[200:201], v[148:151]// 000000003A60: D3D70094 0E539128
	v_mfma_i32_16x16x32_i8 v[148:151], a[42:43], v[202:203], v[148:151]// 000000003A68: D3D70094 0E53952A
	buffer_load_dwordx4 a[140:143], v36, s[24:27], 0 offen offset:3072// 000000003A70: E05C1C00 80868C24
	v_mfma_i32_16x16x32_i8 v[148:151], a[44:45], v[204:205], v[148:151]// 000000003A78: D3D70094 0E53992C
	v_mfma_i32_16x16x32_i8 v[148:151], a[46:47], v[206:207], v[148:151]// 000000003A80: D3D70094 0E539D2E
	ds_read_b128 v[220:223], v2 offset:8512                    // 000000003A88: D9FE2140 DC000002
	s_waitcnt vmcnt(28)                                        // 000000003A90: BF8C4F7C
	v_mfma_i32_16x16x32_i8 v[152:155], a[48:49], v[176:177], v[152:155]// 000000003A94: D3D70098 0E636130
	v_mfma_i32_16x16x32_i8 v[152:155], a[50:51], v[178:179], v[152:155]// 000000003A9C: D3D70098 0E636532
	buffer_load_dwordx4 a[144:147], v37, s[24:27], 0 offen     // 000000003AA4: E05C1000 80869025
	v_mfma_i32_16x16x32_i8 v[152:155], a[52:53], v[180:181], v[152:155]// 000000003AAC: D3D70098 0E636934
	v_mfma_i32_16x16x32_i8 v[152:155], a[54:55], v[182:183], v[152:155]// 000000003AB4: D3D70098 0E636D36
	ds_read_b128 v[224:227], v2 offset:9344                    // 000000003ABC: D9FE2480 E0000002
	v_mfma_i32_16x16x32_i8 v[152:155], a[56:57], v[184:185], v[152:155]// 000000003AC4: D3D70098 0E637138
	v_mfma_i32_16x16x32_i8 v[152:155], a[58:59], v[186:187], v[152:155]// 000000003ACC: D3D70098 0E63753A
	buffer_load_dwordx4 a[148:151], v37, s[24:27], 0 offen offset:1024// 000000003AD4: E05C1400 80869425
	v_mfma_i32_16x16x32_i8 v[152:155], a[60:61], v[188:189], v[152:155]// 000000003ADC: D3D70098 0E63793C
	v_mfma_i32_16x16x32_i8 v[152:155], a[62:63], v[190:191], v[152:155]// 000000003AE4: D3D70098 0E637D3E
	ds_read_b128 v[228:231], v2 offset:9408                    // 000000003AEC: D9FE24C0 E4000002
	v_mfma_i32_16x16x32_i8 v[156:159], a[48:49], v[192:193], v[156:159]// 000000003AF4: D3D7009C 0E738130
	v_mfma_i32_16x16x32_i8 v[156:159], a[50:51], v[194:195], v[156:159]// 000000003AFC: D3D7009C 0E738532
	buffer_load_dwordx4 a[152:155], v37, s[24:27], 0 offen offset:2048// 000000003B04: E05C1800 80869825
	v_mfma_i32_16x16x32_i8 v[156:159], a[52:53], v[196:197], v[156:159]// 000000003B0C: D3D7009C 0E738934
	v_mfma_i32_16x16x32_i8 v[156:159], a[54:55], v[198:199], v[156:159]// 000000003B14: D3D7009C 0E738D36
	ds_read_b128 v[232:235], v2 offset:9472                    // 000000003B1C: D9FE2500 E8000002
	v_mfma_i32_16x16x32_i8 v[156:159], a[56:57], v[200:201], v[156:159]// 000000003B24: D3D7009C 0E739138
	v_mfma_i32_16x16x32_i8 v[156:159], a[58:59], v[202:203], v[156:159]// 000000003B2C: D3D7009C 0E73953A
	buffer_load_dwordx4 a[156:159], v37, s[24:27], 0 offen offset:3072// 000000003B34: E05C1C00 80869C25
	v_mfma_i32_16x16x32_i8 v[156:159], a[60:61], v[204:205], v[156:159]// 000000003B3C: D3D7009C 0E73993C
	v_mfma_i32_16x16x32_i8 v[156:159], a[62:63], v[206:207], v[156:159]// 000000003B44: D3D7009C 0E739D3E
	ds_read_b128 v[236:239], v2 offset:9536                    // 000000003B4C: D9FE2540 EC000002
	s_waitcnt vmcnt(28)                                        // 000000003B54: BF8C4F7C
	v_mfma_i32_16x16x32_i8 v[160:163], a[64:65], v[176:177], v[160:163]// 000000003B58: D3D700A0 0E836140
	v_mfma_i32_16x16x32_i8 v[160:163], a[66:67], v[178:179], v[160:163]// 000000003B60: D3D700A0 0E836542
	buffer_load_dwordx4 a[160:163], v38, s[24:27], 0 offen     // 000000003B68: E05C1000 8086A026
	v_mfma_i32_16x16x32_i8 v[160:163], a[68:69], v[180:181], v[160:163]// 000000003B70: D3D700A0 0E836944
	v_mfma_i32_16x16x32_i8 v[160:163], a[70:71], v[182:183], v[160:163]// 000000003B78: D3D700A0 0E836D46
	v_mfma_i32_16x16x32_i8 v[160:163], a[72:73], v[184:185], v[160:163]// 000000003B80: D3D700A0 0E837148
	v_mfma_i32_16x16x32_i8 v[160:163], a[74:75], v[186:187], v[160:163]// 000000003B88: D3D700A0 0E83754A
	buffer_load_dwordx4 a[164:167], v38, s[24:27], 0 offen offset:1024// 000000003B90: E05C1400 8086A426
	v_mfma_i32_16x16x32_i8 v[160:163], a[76:77], v[188:189], v[160:163]// 000000003B98: D3D700A0 0E83794C
	v_mfma_i32_16x16x32_i8 v[160:163], a[78:79], v[190:191], v[160:163]// 000000003BA0: D3D700A0 0E837D4E
	v_mfma_i32_16x16x32_i8 v[164:167], a[64:65], v[192:193], v[164:167]// 000000003BA8: D3D700A4 0E938140
	v_mfma_i32_16x16x32_i8 v[164:167], a[66:67], v[194:195], v[164:167]// 000000003BB0: D3D700A4 0E938542
	buffer_load_dwordx4 a[168:171], v38, s[24:27], 0 offen offset:2048// 000000003BB8: E05C1800 8086A826
	v_mfma_i32_16x16x32_i8 v[164:167], a[68:69], v[196:197], v[164:167]// 000000003BC0: D3D700A4 0E938944
	v_mfma_i32_16x16x32_i8 v[164:167], a[70:71], v[198:199], v[164:167]// 000000003BC8: D3D700A4 0E938D46
	v_mfma_i32_16x16x32_i8 v[164:167], a[72:73], v[200:201], v[164:167]// 000000003BD0: D3D700A4 0E939148
	v_mfma_i32_16x16x32_i8 v[164:167], a[74:75], v[202:203], v[164:167]// 000000003BD8: D3D700A4 0E93954A
	buffer_load_dwordx4 a[172:175], v38, s[24:27], 0 offen offset:3072// 000000003BE0: E05C1C00 8086AC26
	v_mfma_i32_16x16x32_i8 v[164:167], a[76:77], v[204:205], v[164:167]// 000000003BE8: D3D700A4 0E93994C
	v_mfma_i32_16x16x32_i8 v[164:167], a[78:79], v[206:207], v[164:167]// 000000003BF0: D3D700A4 0E939D4E
	s_waitcnt vmcnt(28)                                        // 000000003BF8: BF8C4F7C
	v_mfma_i32_16x16x32_i8 v[168:171], a[80:81], v[176:177], v[168:171]// 000000003BFC: D3D700A8 0EA36150
	v_mfma_i32_16x16x32_i8 v[168:171], a[82:83], v[178:179], v[168:171]// 000000003C04: D3D700A8 0EA36552
	buffer_load_dwordx4 a[176:179], v39, s[24:27], 0 offen     // 000000003C0C: E05C1000 8086B027
	v_mfma_i32_16x16x32_i8 v[168:171], a[84:85], v[180:181], v[168:171]// 000000003C14: D3D700A8 0EA36954
	v_mfma_i32_16x16x32_i8 v[168:171], a[86:87], v[182:183], v[168:171]// 000000003C1C: D3D700A8 0EA36D56
	v_mfma_i32_16x16x32_i8 v[168:171], a[88:89], v[184:185], v[168:171]// 000000003C24: D3D700A8 0EA37158
	v_mfma_i32_16x16x32_i8 v[168:171], a[90:91], v[186:187], v[168:171]// 000000003C2C: D3D700A8 0EA3755A
	buffer_load_dwordx4 a[180:183], v39, s[24:27], 0 offen offset:1024// 000000003C34: E05C1400 8086B427
	v_mfma_i32_16x16x32_i8 v[168:171], a[92:93], v[188:189], v[168:171]// 000000003C3C: D3D700A8 0EA3795C
	v_mfma_i32_16x16x32_i8 v[168:171], a[94:95], v[190:191], v[168:171]// 000000003C44: D3D700A8 0EA37D5E
	v_mfma_i32_16x16x32_i8 v[172:175], a[80:81], v[192:193], v[172:175]// 000000003C4C: D3D700AC 0EB38150
	v_mfma_i32_16x16x32_i8 v[172:175], a[82:83], v[194:195], v[172:175]// 000000003C54: D3D700AC 0EB38552
	buffer_load_dwordx4 a[184:187], v39, s[24:27], 0 offen offset:2048// 000000003C5C: E05C1800 8086B827
	v_mfma_i32_16x16x32_i8 v[172:175], a[84:85], v[196:197], v[172:175]// 000000003C64: D3D700AC 0EB38954
	v_mfma_i32_16x16x32_i8 v[172:175], a[86:87], v[198:199], v[172:175]// 000000003C6C: D3D700AC 0EB38D56
	v_mfma_i32_16x16x32_i8 v[172:175], a[88:89], v[200:201], v[172:175]// 000000003C74: D3D700AC 0EB39158
	v_mfma_i32_16x16x32_i8 v[172:175], a[90:91], v[202:203], v[172:175]// 000000003C7C: D3D700AC 0EB3955A
	buffer_load_dwordx4 a[188:191], v39, s[24:27], 0 offen offset:3072// 000000003C84: E05C1C00 8086BC27
	v_mfma_i32_16x16x32_i8 v[172:175], a[92:93], v[204:205], v[172:175]// 000000003C8C: D3D700AC 0EB3995C
	v_mfma_i32_16x16x32_i8 v[172:175], a[94:95], v[206:207], v[172:175]// 000000003C94: D3D700AC 0EB39D5E
	s_add_u32 s60, 0x300, s80                                  // 000000003C9C: 803C50FF 00000300
	s_cmp_lt_u32 s60, s81                                      // 000000003CA4: BF0A513C
	s_cselect_b32 s57, s57, 0                                  // 000000003CA8: 85398039
	s_add_u32 s60, 0x200, s80                                  // 000000003CAC: 803C50FF 00000200
	s_cmp_lt_u32 s60, s81                                      // 000000003CB4: BF0A513C
	s_cselect_b32 s58, s58, 0                                  // 000000003CB8: 853A803A
	s_add_u32 s20, s57, s20                                    // 000000003CBC: 80141439
	s_addc_u32 s21, 0, s21                                     // 000000003CC0: 82151580
	s_add_u32 s24, s58, s24                                    // 000000003CC4: 8018183A
	s_addc_u32 s25, 0, s25                                     // 000000003CC8: 82191980
	s_addk_i32 s80, 0x100                                      // 000000003CCC: B7500100
	s_cmp_lt_i32 s80, s81                                      // 000000003CD0: BF045150
	s_cbranch_scc0 label_04EB                                  // 000000003CD4: BF840135
	s_waitcnt vmcnt(16) lgkmcnt(0)                             // 000000003CD8: BF8C4070
	s_barrier                                                  // 000000003CDC: BF8A0000
	v_mfma_i32_16x16x32_i8 v[128:131], a[96:97], v[208:209], v[128:131]// 000000003CE0: D3D70080 0E03A160
	v_mfma_i32_16x16x32_i8 v[128:131], a[98:99], v[210:211], v[128:131]// 000000003CE8: D3D70080 0E03A562
	buffer_load_dwordx4 a[0:3], v34, s[24:27], 0 offen         // 000000003CF0: E05C1000 80860022
	v_mfma_i32_16x16x32_i8 v[128:131], a[100:101], v[212:213], v[128:131]// 000000003CF8: D3D70080 0E03A964
	v_mfma_i32_16x16x32_i8 v[128:131], a[102:103], v[214:215], v[128:131]// 000000003D00: D3D70080 0E03AD66
	buffer_load_dword v26, s[20:23], 0 offen lds               // 000000003D08: E0511000 8005001A
	s_add_u32 m0, 0x100, s51                                   // 000000003D10: 807C33FF 00000100
	v_mfma_i32_16x16x32_i8 v[128:131], a[104:105], v[216:217], v[128:131]// 000000003D18: D3D70080 0E03B168
	v_mfma_i32_16x16x32_i8 v[128:131], a[106:107], v[218:219], v[128:131]// 000000003D20: D3D70080 0E03B56A
	buffer_load_dwordx4 a[4:7], v34, s[24:27], 0 offen offset:1024// 000000003D28: E05C1400 80860422
	v_mfma_i32_16x16x32_i8 v[128:131], a[108:109], v[220:221], v[128:131]// 000000003D30: D3D70080 0E03B96C
	v_mfma_i32_16x16x32_i8 v[128:131], a[110:111], v[222:223], v[128:131]// 000000003D38: D3D70080 0E03BD6E
	buffer_load_dword v27, s[20:23], 0 offen lds               // 000000003D40: E0511000 8005001B
	s_add_u32 m0, 0x200, s51                                   // 000000003D48: 807C33FF 00000200
	v_mfma_i32_16x16x32_i8 v[132:135], a[96:97], v[224:225], v[132:135]// 000000003D50: D3D70084 0E13C160
	v_mfma_i32_16x16x32_i8 v[132:135], a[98:99], v[226:227], v[132:135]// 000000003D58: D3D70084 0E13C562
	buffer_load_dwordx4 a[8:11], v34, s[24:27], 0 offen offset:2048// 000000003D60: E05C1800 80860822
	v_mfma_i32_16x16x32_i8 v[132:135], a[100:101], v[228:229], v[132:135]// 000000003D68: D3D70084 0E13C964
	v_mfma_i32_16x16x32_i8 v[132:135], a[102:103], v[230:231], v[132:135]// 000000003D70: D3D70084 0E13CD66
	buffer_load_dword v28, s[20:23], 0 offen lds               // 000000003D78: E0511000 8005001C
	s_add_u32 m0, 0x300, s51                                   // 000000003D80: 807C33FF 00000300
	v_mfma_i32_16x16x32_i8 v[132:135], a[104:105], v[232:233], v[132:135]// 000000003D88: D3D70084 0E13D168
	v_mfma_i32_16x16x32_i8 v[132:135], a[106:107], v[234:235], v[132:135]// 000000003D90: D3D70084 0E13D56A
	buffer_load_dwordx4 a[12:15], v34, s[24:27], 0 offen offset:3072// 000000003D98: E05C1C00 80860C22
	v_mfma_i32_16x16x32_i8 v[132:135], a[108:109], v[236:237], v[132:135]// 000000003DA0: D3D70084 0E13D96C
	v_mfma_i32_16x16x32_i8 v[132:135], a[110:111], v[238:239], v[132:135]// 000000003DA8: D3D70084 0E13DD6E
	buffer_load_dword v29, s[20:23], 0 offen lds               // 000000003DB0: E0511000 8005001D
	s_add_u32 m0, 0x400, s51                                   // 000000003DB8: 807C33FF 00000400
	v_mfma_i32_16x16x32_i8 v[136:139], a[112:113], v[208:209], v[136:139]// 000000003DC0: D3D70088 0E23A170
	v_mfma_i32_16x16x32_i8 v[136:139], a[114:115], v[210:211], v[136:139]// 000000003DC8: D3D70088 0E23A572
	buffer_load_dwordx4 a[16:19], v35, s[24:27], 0 offen       // 000000003DD0: E05C1000 80861023
	v_mfma_i32_16x16x32_i8 v[136:139], a[116:117], v[212:213], v[136:139]// 000000003DD8: D3D70088 0E23A974
	v_mfma_i32_16x16x32_i8 v[136:139], a[118:119], v[214:215], v[136:139]// 000000003DE0: D3D70088 0E23AD76
	buffer_load_dword v30, s[20:23], 0 offen lds               // 000000003DE8: E0511000 8005001E
	s_add_u32 m0, 0x500, s51                                   // 000000003DF0: 807C33FF 00000500
	v_mfma_i32_16x16x32_i8 v[136:139], a[120:121], v[216:217], v[136:139]// 000000003DF8: D3D70088 0E23B178
	v_mfma_i32_16x16x32_i8 v[136:139], a[122:123], v[218:219], v[136:139]// 000000003E00: D3D70088 0E23B57A
	buffer_load_dwordx4 a[20:23], v35, s[24:27], 0 offen offset:1024// 000000003E08: E05C1400 80861423
	v_mfma_i32_16x16x32_i8 v[136:139], a[124:125], v[220:221], v[136:139]// 000000003E10: D3D70088 0E23B97C
	v_mfma_i32_16x16x32_i8 v[136:139], a[126:127], v[222:223], v[136:139]// 000000003E18: D3D70088 0E23BD7E
	buffer_load_dword v31, s[20:23], 0 offen lds               // 000000003E20: E0511000 8005001F
	s_add_u32 m0, 0x600, s51                                   // 000000003E28: 807C33FF 00000600
	v_mfma_i32_16x16x32_i8 v[140:143], a[112:113], v[224:225], v[140:143]// 000000003E30: D3D7008C 0E33C170
	v_mfma_i32_16x16x32_i8 v[140:143], a[114:115], v[226:227], v[140:143]// 000000003E38: D3D7008C 0E33C572
	buffer_load_dwordx4 a[24:27], v35, s[24:27], 0 offen offset:2048// 000000003E40: E05C1800 80861823
	v_mfma_i32_16x16x32_i8 v[140:143], a[116:117], v[228:229], v[140:143]// 000000003E48: D3D7008C 0E33C974
	v_mfma_i32_16x16x32_i8 v[140:143], a[118:119], v[230:231], v[140:143]// 000000003E50: D3D7008C 0E33CD76
	buffer_load_dword v32, s[20:23], 0 offen lds               // 000000003E58: E0511000 80050020
	s_add_u32 m0, 0x700, s51                                   // 000000003E60: 807C33FF 00000700
	v_mfma_i32_16x16x32_i8 v[140:143], a[120:121], v[232:233], v[140:143]// 000000003E68: D3D7008C 0E33D178
	v_mfma_i32_16x16x32_i8 v[140:143], a[122:123], v[234:235], v[140:143]// 000000003E70: D3D7008C 0E33D57A
	buffer_load_dwordx4 a[28:31], v35, s[24:27], 0 offen offset:3072// 000000003E78: E05C1C00 80861C23
	v_mfma_i32_16x16x32_i8 v[140:143], a[124:125], v[236:237], v[140:143]// 000000003E80: D3D7008C 0E33D97C
	v_mfma_i32_16x16x32_i8 v[140:143], a[126:127], v[238:239], v[140:143]// 000000003E88: D3D7008C 0E33DD7E
	buffer_load_dword v33, s[20:23], 0 offen lds               // 000000003E90: E0511000 80050021
	s_add_u32 m0, 0, s50                                       // 000000003E98: 807C3280
	s_waitcnt vmcnt(28)                                        // 000000003E9C: BF8C4F7C
	v_mfma_i32_16x16x32_i8 v[144:147], a[128:129], v[208:209], v[144:147]// 000000003EA0: D3D70090 0E43A180
	v_mfma_i32_16x16x32_i8 v[144:147], a[130:131], v[210:211], v[144:147]// 000000003EA8: D3D70090 0E43A582
	buffer_load_dwordx4 a[32:35], v36, s[24:27], 0 offen       // 000000003EB0: E05C1000 80862024
	v_mfma_i32_16x16x32_i8 v[144:147], a[132:133], v[212:213], v[144:147]// 000000003EB8: D3D70090 0E43A984
	v_mfma_i32_16x16x32_i8 v[144:147], a[134:135], v[214:215], v[144:147]// 000000003EC0: D3D70090 0E43AD86
	ds_read_b128 v[176:179], v2                                // 000000003EC8: D9FE0000 B0000002
	v_mfma_i32_16x16x32_i8 v[144:147], a[136:137], v[216:217], v[144:147]// 000000003ED0: D3D70090 0E43B188
	v_mfma_i32_16x16x32_i8 v[144:147], a[138:139], v[218:219], v[144:147]// 000000003ED8: D3D70090 0E43B58A
	buffer_load_dwordx4 a[36:39], v36, s[24:27], 0 offen offset:1024// 000000003EE0: E05C1400 80862424
	v_mfma_i32_16x16x32_i8 v[144:147], a[140:141], v[220:221], v[144:147]// 000000003EE8: D3D70090 0E43B98C
	v_mfma_i32_16x16x32_i8 v[144:147], a[142:143], v[222:223], v[144:147]// 000000003EF0: D3D70090 0E43BD8E
	ds_read_b128 v[180:183], v2 offset:64                      // 000000003EF8: D9FE0040 B4000002
	v_mfma_i32_16x16x32_i8 v[148:151], a[128:129], v[224:225], v[148:151]// 000000003F00: D3D70094 0E53C180
	v_mfma_i32_16x16x32_i8 v[148:151], a[130:131], v[226:227], v[148:151]// 000000003F08: D3D70094 0E53C582
	buffer_load_dwordx4 a[40:43], v36, s[24:27], 0 offen offset:2048// 000000003F10: E05C1800 80862824
	v_mfma_i32_16x16x32_i8 v[148:151], a[132:133], v[228:229], v[148:151]// 000000003F18: D3D70094 0E53C984
	v_mfma_i32_16x16x32_i8 v[148:151], a[134:135], v[230:231], v[148:151]// 000000003F20: D3D70094 0E53CD86
	ds_read_b128 v[184:187], v2 offset:128                     // 000000003F28: D9FE0080 B8000002
	v_mfma_i32_16x16x32_i8 v[148:151], a[136:137], v[232:233], v[148:151]// 000000003F30: D3D70094 0E53D188
	v_mfma_i32_16x16x32_i8 v[148:151], a[138:139], v[234:235], v[148:151]// 000000003F38: D3D70094 0E53D58A
	buffer_load_dwordx4 a[44:47], v36, s[24:27], 0 offen offset:3072// 000000003F40: E05C1C00 80862C24
	v_mfma_i32_16x16x32_i8 v[148:151], a[140:141], v[236:237], v[148:151]// 000000003F48: D3D70094 0E53D98C
	v_mfma_i32_16x16x32_i8 v[148:151], a[142:143], v[238:239], v[148:151]// 000000003F50: D3D70094 0E53DD8E
	ds_read_b128 v[188:191], v2 offset:192                     // 000000003F58: D9FE00C0 BC000002
	s_waitcnt vmcnt(28)                                        // 000000003F60: BF8C4F7C
	v_mfma_i32_16x16x32_i8 v[152:155], a[144:145], v[208:209], v[152:155]// 000000003F64: D3D70098 0E63A190
	v_mfma_i32_16x16x32_i8 v[152:155], a[146:147], v[210:211], v[152:155]// 000000003F6C: D3D70098 0E63A592
	buffer_load_dwordx4 a[48:51], v37, s[24:27], 0 offen       // 000000003F74: E05C1000 80863025
	v_mfma_i32_16x16x32_i8 v[152:155], a[148:149], v[212:213], v[152:155]// 000000003F7C: D3D70098 0E63A994
	v_mfma_i32_16x16x32_i8 v[152:155], a[150:151], v[214:215], v[152:155]// 000000003F84: D3D70098 0E63AD96
	ds_read_b128 v[192:195], v2 offset:1024                    // 000000003F8C: D9FE0400 C0000002
	v_mfma_i32_16x16x32_i8 v[152:155], a[152:153], v[216:217], v[152:155]// 000000003F94: D3D70098 0E63B198
	v_mfma_i32_16x16x32_i8 v[152:155], a[154:155], v[218:219], v[152:155]// 000000003F9C: D3D70098 0E63B59A
	buffer_load_dwordx4 a[52:55], v37, s[24:27], 0 offen offset:1024// 000000003FA4: E05C1400 80863425
	v_mfma_i32_16x16x32_i8 v[152:155], a[156:157], v[220:221], v[152:155]// 000000003FAC: D3D70098 0E63B99C
	v_mfma_i32_16x16x32_i8 v[152:155], a[158:159], v[222:223], v[152:155]// 000000003FB4: D3D70098 0E63BD9E
	ds_read_b128 v[196:199], v2 offset:1088                    // 000000003FBC: D9FE0440 C4000002
	v_mfma_i32_16x16x32_i8 v[156:159], a[144:145], v[224:225], v[156:159]// 000000003FC4: D3D7009C 0E73C190
	v_mfma_i32_16x16x32_i8 v[156:159], a[146:147], v[226:227], v[156:159]// 000000003FCC: D3D7009C 0E73C592
	buffer_load_dwordx4 a[56:59], v37, s[24:27], 0 offen offset:2048// 000000003FD4: E05C1800 80863825
	v_mfma_i32_16x16x32_i8 v[156:159], a[148:149], v[228:229], v[156:159]// 000000003FDC: D3D7009C 0E73C994
	v_mfma_i32_16x16x32_i8 v[156:159], a[150:151], v[230:231], v[156:159]// 000000003FE4: D3D7009C 0E73CD96
	ds_read_b128 v[200:203], v2 offset:1152                    // 000000003FEC: D9FE0480 C8000002
	v_mfma_i32_16x16x32_i8 v[156:159], a[152:153], v[232:233], v[156:159]// 000000003FF4: D3D7009C 0E73D198
	v_mfma_i32_16x16x32_i8 v[156:159], a[154:155], v[234:235], v[156:159]// 000000003FFC: D3D7009C 0E73D59A
	buffer_load_dwordx4 a[60:63], v37, s[24:27], 0 offen offset:3072// 000000004004: E05C1C00 80863C25
	v_mfma_i32_16x16x32_i8 v[156:159], a[156:157], v[236:237], v[156:159]// 00000000400C: D3D7009C 0E73D99C
	v_mfma_i32_16x16x32_i8 v[156:159], a[158:159], v[238:239], v[156:159]// 000000004014: D3D7009C 0E73DD9E
	ds_read_b128 v[204:207], v2 offset:1216                    // 00000000401C: D9FE04C0 CC000002
	s_waitcnt vmcnt(28)                                        // 000000004024: BF8C4F7C
	v_mfma_i32_16x16x32_i8 v[160:163], a[160:161], v[208:209], v[160:163]// 000000004028: D3D700A0 0E83A1A0
	v_mfma_i32_16x16x32_i8 v[160:163], a[162:163], v[210:211], v[160:163]// 000000004030: D3D700A0 0E83A5A2
	buffer_load_dwordx4 a[64:67], v38, s[24:27], 0 offen       // 000000004038: E05C1000 80864026
	v_mfma_i32_16x16x32_i8 v[160:163], a[164:165], v[212:213], v[160:163]// 000000004040: D3D700A0 0E83A9A4
	v_mfma_i32_16x16x32_i8 v[160:163], a[166:167], v[214:215], v[160:163]// 000000004048: D3D700A0 0E83ADA6
	v_mfma_i32_16x16x32_i8 v[160:163], a[168:169], v[216:217], v[160:163]// 000000004050: D3D700A0 0E83B1A8
	v_mfma_i32_16x16x32_i8 v[160:163], a[170:171], v[218:219], v[160:163]// 000000004058: D3D700A0 0E83B5AA
	buffer_load_dwordx4 a[68:71], v38, s[24:27], 0 offen offset:1024// 000000004060: E05C1400 80864426
	v_mfma_i32_16x16x32_i8 v[160:163], a[172:173], v[220:221], v[160:163]// 000000004068: D3D700A0 0E83B9AC
	v_mfma_i32_16x16x32_i8 v[160:163], a[174:175], v[222:223], v[160:163]// 000000004070: D3D700A0 0E83BDAE
	v_mfma_i32_16x16x32_i8 v[164:167], a[160:161], v[224:225], v[164:167]// 000000004078: D3D700A4 0E93C1A0
	v_mfma_i32_16x16x32_i8 v[164:167], a[162:163], v[226:227], v[164:167]// 000000004080: D3D700A4 0E93C5A2
	buffer_load_dwordx4 a[72:75], v38, s[24:27], 0 offen offset:2048// 000000004088: E05C1800 80864826
	v_mfma_i32_16x16x32_i8 v[164:167], a[164:165], v[228:229], v[164:167]// 000000004090: D3D700A4 0E93C9A4
	v_mfma_i32_16x16x32_i8 v[164:167], a[166:167], v[230:231], v[164:167]// 000000004098: D3D700A4 0E93CDA6
	v_mfma_i32_16x16x32_i8 v[164:167], a[168:169], v[232:233], v[164:167]// 0000000040A0: D3D700A4 0E93D1A8
	v_mfma_i32_16x16x32_i8 v[164:167], a[170:171], v[234:235], v[164:167]// 0000000040A8: D3D700A4 0E93D5AA
	buffer_load_dwordx4 a[76:79], v38, s[24:27], 0 offen offset:3072// 0000000040B0: E05C1C00 80864C26
	v_mfma_i32_16x16x32_i8 v[164:167], a[172:173], v[236:237], v[164:167]// 0000000040B8: D3D700A4 0E93D9AC
	v_mfma_i32_16x16x32_i8 v[164:167], a[174:175], v[238:239], v[164:167]// 0000000040C0: D3D700A4 0E93DDAE
	s_waitcnt vmcnt(28)                                        // 0000000040C8: BF8C4F7C
	v_mfma_i32_16x16x32_i8 v[168:171], a[176:177], v[208:209], v[168:171]// 0000000040CC: D3D700A8 0EA3A1B0
	v_mfma_i32_16x16x32_i8 v[168:171], a[178:179], v[210:211], v[168:171]// 0000000040D4: D3D700A8 0EA3A5B2
	buffer_load_dwordx4 a[80:83], v39, s[24:27], 0 offen       // 0000000040DC: E05C1000 80865027
	v_mfma_i32_16x16x32_i8 v[168:171], a[180:181], v[212:213], v[168:171]// 0000000040E4: D3D700A8 0EA3A9B4
	v_mfma_i32_16x16x32_i8 v[168:171], a[182:183], v[214:215], v[168:171]// 0000000040EC: D3D700A8 0EA3ADB6
	v_mfma_i32_16x16x32_i8 v[168:171], a[184:185], v[216:217], v[168:171]// 0000000040F4: D3D700A8 0EA3B1B8
	v_mfma_i32_16x16x32_i8 v[168:171], a[186:187], v[218:219], v[168:171]// 0000000040FC: D3D700A8 0EA3B5BA
	buffer_load_dwordx4 a[84:87], v39, s[24:27], 0 offen offset:1024// 000000004104: E05C1400 80865427
	v_mfma_i32_16x16x32_i8 v[168:171], a[188:189], v[220:221], v[168:171]// 00000000410C: D3D700A8 0EA3B9BC
	v_mfma_i32_16x16x32_i8 v[168:171], a[190:191], v[222:223], v[168:171]// 000000004114: D3D700A8 0EA3BDBE
	v_mfma_i32_16x16x32_i8 v[172:175], a[176:177], v[224:225], v[172:175]// 00000000411C: D3D700AC 0EB3C1B0
	v_mfma_i32_16x16x32_i8 v[172:175], a[178:179], v[226:227], v[172:175]// 000000004124: D3D700AC 0EB3C5B2
	buffer_load_dwordx4 a[88:91], v39, s[24:27], 0 offen offset:2048// 00000000412C: E05C1800 80865827
	v_mfma_i32_16x16x32_i8 v[172:175], a[180:181], v[228:229], v[172:175]// 000000004134: D3D700AC 0EB3C9B4
	v_mfma_i32_16x16x32_i8 v[172:175], a[182:183], v[230:231], v[172:175]// 00000000413C: D3D700AC 0EB3CDB6
	v_mfma_i32_16x16x32_i8 v[172:175], a[184:185], v[232:233], v[172:175]// 000000004144: D3D700AC 0EB3D1B8
	v_mfma_i32_16x16x32_i8 v[172:175], a[186:187], v[234:235], v[172:175]// 00000000414C: D3D700AC 0EB3D5BA
	buffer_load_dwordx4 a[92:95], v39, s[24:27], 0 offen offset:3072// 000000004154: E05C1C00 80865C27
	v_mfma_i32_16x16x32_i8 v[172:175], a[188:189], v[236:237], v[172:175]// 00000000415C: D3D700AC 0EB3D9BC
	v_mfma_i32_16x16x32_i8 v[172:175], a[190:191], v[238:239], v[172:175]// 000000004164: D3D700AC 0EB3DDBE
	s_add_u32 s60, 0x300, s80                                  // 00000000416C: 803C50FF 00000300
	s_cmp_lt_u32 s60, s81                                      // 000000004174: BF0A513C
	s_cselect_b32 s57, s57, 0                                  // 000000004178: 85398039
	s_add_u32 s60, 0x200, s80                                  // 00000000417C: 803C50FF 00000200
	s_cmp_lt_u32 s60, s81                                      // 000000004184: BF0A513C
	s_cselect_b32 s58, s58, 0                                  // 000000004188: 853A803A
	s_add_u32 s20, s57, s20                                    // 00000000418C: 80141439
	s_addc_u32 s21, 0, s21                                     // 000000004190: 82151580
	s_add_u32 s24, s58, s24                                    // 000000004194: 8018183A
	s_addc_u32 s25, 0, s25                                     // 000000004198: 82191980
	s_addk_i32 s80, 0x100                                      // 00000000419C: B7500100
	s_cmp_lt_i32 s80, s81                                      // 0000000041A0: BF045150
	s_cbranch_scc0 label_04EB                                  // 0000000041A4: BF840001
	s_branch label_0282                                        // 0000000041A8: BF82FD97

00000000000041ac <label_04EB>:
	s_mov_b32 s36, -1                                          // 0000000041AC: BEA400C1
	s_mov_b32 s37, -1                                          // 0000000041B0: BEA500C1
	s_mov_b64 s[60:61], 0                                      // 0000000041B4: BEBC0180
	s_cmp_lt_u32 s82, s66                                      // 0000000041B8: BF0A4252
	s_cselect_b64 s[20:21], s[36:37], s[60:61]                 // 0000000041BC: 85943C24
	s_cmp_lt_u32 s83, s66                                      // 0000000041C0: BF0A4253
	s_cselect_b64 s[22:23], s[36:37], s[60:61]                 // 0000000041C4: 85963C24
	s_cmp_lt_u32 s84, s66                                      // 0000000041C8: BF0A4254
	s_cselect_b64 s[24:25], s[36:37], s[60:61]                 // 0000000041CC: 85983C24
	s_cmp_lt_u32 s85, s66                                      // 0000000041D0: BF0A4255
	s_cselect_b64 s[26:27], s[36:37], s[60:61]                 // 0000000041D4: 859A3C24
	s_cmp_lt_u32 s86, s66                                      // 0000000041D8: BF0A4256
	s_cselect_b64 s[28:29], s[36:37], s[60:61]                 // 0000000041DC: 859C3C24
	s_cmp_lt_u32 s87, s66                                      // 0000000041E0: BF0A4257
	s_cselect_b64 s[30:31], s[36:37], s[60:61]                 // 0000000041E4: 859E3C24
	s_cmp_lt_u32 s88, s66                                      // 0000000041E8: BF0A4258
	s_cselect_b64 s[32:33], s[36:37], s[60:61]                 // 0000000041EC: 85A03C24
	s_cmp_lt_u32 s89, s66                                      // 0000000041F0: BF0A4259
	s_cselect_b64 s[34:35], s[36:37], s[60:61]                 // 0000000041F4: 85A23C24
	v_cvt_f32_i32_e32 v128, v128                               // 0000000041F8: 7F000B80
	v_cvt_f32_i32_e32 v129, v129                               // 0000000041FC: 7F020B81
	v_cvt_f32_i32_e32 v130, v130                               // 000000004200: 7F040B82
	v_cvt_f32_i32_e32 v131, v131                               // 000000004204: 7F060B83
	v_mul_f32_e32 v128, v14, v128                              // 000000004208: 0B01010E
	v_mul_f32_e32 v129, v14, v129                              // 00000000420C: 0B03030E
	v_mul_f32_e32 v130, v14, v130                              // 000000004210: 0B05050E
	v_mul_f32_e32 v131, v14, v131                              // 000000004214: 0B07070E
	v_mul_f32_dpp v128, v16, v128 row_newbcast:0 row_mask:0xf bank_mask:0xf// 000000004218: 0B0100FA FF015010
	v_mul_f32_dpp v129, v16, v129 row_newbcast:1 row_mask:0xf bank_mask:0xf// 000000004220: 0B0302FA FF015110
	v_mul_f32_dpp v130, v16, v130 row_newbcast:2 row_mask:0xf bank_mask:0xf// 000000004228: 0B0504FA FF015210
	v_mul_f32_dpp v131, v16, v131 row_newbcast:3 row_mask:0xf bank_mask:0xf// 000000004230: 0B0706FA FF015310
	v_cvt_f32_i32_e32 v132, v132                               // 000000004238: 7F080B84
	v_cvt_f32_i32_e32 v133, v133                               // 00000000423C: 7F0A0B85
	v_cvt_f32_i32_e32 v134, v134                               // 000000004240: 7F0C0B86
	v_cvt_f32_i32_e32 v135, v135                               // 000000004244: 7F0E0B87
	v_mul_f32_e32 v132, v15, v132                              // 000000004248: 0B09090F
	v_mul_f32_e32 v133, v15, v133                              // 00000000424C: 0B0B0B0F
	v_mul_f32_e32 v134, v15, v134                              // 000000004250: 0B0D0D0F
	v_mul_f32_e32 v135, v15, v135                              // 000000004254: 0B0F0F0F
	v_mul_f32_dpp v132, v16, v132 row_newbcast:0 row_mask:0xf bank_mask:0xf// 000000004258: 0B0908FA FF015010
	v_mul_f32_dpp v133, v16, v133 row_newbcast:1 row_mask:0xf bank_mask:0xf// 000000004260: 0B0B0AFA FF015110
	v_mul_f32_dpp v134, v16, v134 row_newbcast:2 row_mask:0xf bank_mask:0xf// 000000004268: 0B0D0CFA FF015210
	v_mul_f32_dpp v135, v16, v135 row_newbcast:3 row_mask:0xf bank_mask:0xf// 000000004270: 0B0F0EFA FF015310
	v_cvt_f32_i32_e32 v136, v136                               // 000000004278: 7F100B88
	v_cvt_f32_i32_e32 v137, v137                               // 00000000427C: 7F120B89
	v_cvt_f32_i32_e32 v138, v138                               // 000000004280: 7F140B8A
	v_cvt_f32_i32_e32 v139, v139                               // 000000004284: 7F160B8B
	v_mul_f32_e32 v136, v14, v136                              // 000000004288: 0B11110E
	v_mul_f32_e32 v137, v14, v137                              // 00000000428C: 0B13130E
	v_mul_f32_e32 v138, v14, v138                              // 000000004290: 0B15150E
	v_mul_f32_e32 v139, v14, v139                              // 000000004294: 0B17170E
	v_mul_f32_dpp v136, v16, v136 row_newbcast:4 row_mask:0xf bank_mask:0xf// 000000004298: 0B1110FA FF015410
	v_mul_f32_dpp v137, v16, v137 row_newbcast:5 row_mask:0xf bank_mask:0xf// 0000000042A0: 0B1312FA FF015510
	v_mul_f32_dpp v138, v16, v138 row_newbcast:6 row_mask:0xf bank_mask:0xf// 0000000042A8: 0B1514FA FF015610
	v_mul_f32_dpp v139, v16, v139 row_newbcast:7 row_mask:0xf bank_mask:0xf// 0000000042B0: 0B1716FA FF015710
	v_cvt_f32_i32_e32 v140, v140                               // 0000000042B8: 7F180B8C
	v_cvt_f32_i32_e32 v141, v141                               // 0000000042BC: 7F1A0B8D
	v_cvt_f32_i32_e32 v142, v142                               // 0000000042C0: 7F1C0B8E
	v_cvt_f32_i32_e32 v143, v143                               // 0000000042C4: 7F1E0B8F
	v_mul_f32_e32 v140, v15, v140                              // 0000000042C8: 0B19190F
	v_mul_f32_e32 v141, v15, v141                              // 0000000042CC: 0B1B1B0F
	v_mul_f32_e32 v142, v15, v142                              // 0000000042D0: 0B1D1D0F
	v_mul_f32_e32 v143, v15, v143                              // 0000000042D4: 0B1F1F0F
	v_mul_f32_dpp v140, v16, v140 row_newbcast:4 row_mask:0xf bank_mask:0xf// 0000000042D8: 0B1918FA FF015410
	v_mul_f32_dpp v141, v16, v141 row_newbcast:5 row_mask:0xf bank_mask:0xf// 0000000042E0: 0B1B1AFA FF015510
	v_mul_f32_dpp v142, v16, v142 row_newbcast:6 row_mask:0xf bank_mask:0xf// 0000000042E8: 0B1D1CFA FF015610
	v_mul_f32_dpp v143, v16, v143 row_newbcast:7 row_mask:0xf bank_mask:0xf// 0000000042F0: 0B1F1EFA FF015710
	v_cvt_f32_i32_e32 v144, v144                               // 0000000042F8: 7F200B90
	v_cvt_f32_i32_e32 v145, v145                               // 0000000042FC: 7F220B91
	v_cvt_f32_i32_e32 v146, v146                               // 000000004300: 7F240B92
	v_cvt_f32_i32_e32 v147, v147                               // 000000004304: 7F260B93
	v_mul_f32_e32 v144, v14, v144                              // 000000004308: 0B21210E
	v_mul_f32_e32 v145, v14, v145                              // 00000000430C: 0B23230E
	v_mul_f32_e32 v146, v14, v146                              // 000000004310: 0B25250E
	v_mul_f32_e32 v147, v14, v147                              // 000000004314: 0B27270E
	v_mul_f32_dpp v144, v16, v144 row_newbcast:8 row_mask:0xf bank_mask:0xf// 000000004318: 0B2120FA FF015810
	v_mul_f32_dpp v145, v16, v145 row_newbcast:9 row_mask:0xf bank_mask:0xf// 000000004320: 0B2322FA FF015910
	v_mul_f32_dpp v146, v16, v146 row_newbcast:10 row_mask:0xf bank_mask:0xf// 000000004328: 0B2524FA FF015A10
	v_mul_f32_dpp v147, v16, v147 row_newbcast:11 row_mask:0xf bank_mask:0xf// 000000004330: 0B2726FA FF015B10
	v_cvt_f32_i32_e32 v148, v148                               // 000000004338: 7F280B94
	v_cvt_f32_i32_e32 v149, v149                               // 00000000433C: 7F2A0B95
	v_cvt_f32_i32_e32 v150, v150                               // 000000004340: 7F2C0B96
	v_cvt_f32_i32_e32 v151, v151                               // 000000004344: 7F2E0B97
	v_mul_f32_e32 v148, v15, v148                              // 000000004348: 0B29290F
	v_mul_f32_e32 v149, v15, v149                              // 00000000434C: 0B2B2B0F
	v_mul_f32_e32 v150, v15, v150                              // 000000004350: 0B2D2D0F
	v_mul_f32_e32 v151, v15, v151                              // 000000004354: 0B2F2F0F
	v_mul_f32_dpp v148, v16, v148 row_newbcast:8 row_mask:0xf bank_mask:0xf// 000000004358: 0B2928FA FF015810
	v_mul_f32_dpp v149, v16, v149 row_newbcast:9 row_mask:0xf bank_mask:0xf// 000000004360: 0B2B2AFA FF015910
	v_mul_f32_dpp v150, v16, v150 row_newbcast:10 row_mask:0xf bank_mask:0xf// 000000004368: 0B2D2CFA FF015A10
	v_mul_f32_dpp v151, v16, v151 row_newbcast:11 row_mask:0xf bank_mask:0xf// 000000004370: 0B2F2EFA FF015B10
	v_cvt_f32_i32_e32 v152, v152                               // 000000004378: 7F300B98
	v_cvt_f32_i32_e32 v153, v153                               // 00000000437C: 7F320B99
	v_cvt_f32_i32_e32 v154, v154                               // 000000004380: 7F340B9A
	v_cvt_f32_i32_e32 v155, v155                               // 000000004384: 7F360B9B
	v_mul_f32_e32 v152, v14, v152                              // 000000004388: 0B31310E
	v_mul_f32_e32 v153, v14, v153                              // 00000000438C: 0B33330E
	v_mul_f32_e32 v154, v14, v154                              // 000000004390: 0B35350E
	v_mul_f32_e32 v155, v14, v155                              // 000000004394: 0B37370E
	v_mul_f32_dpp v152, v16, v152 row_newbcast:12 row_mask:0xf bank_mask:0xf// 000000004398: 0B3130FA FF015C10
	v_mul_f32_dpp v153, v16, v153 row_newbcast:13 row_mask:0xf bank_mask:0xf// 0000000043A0: 0B3332FA FF015D10
	v_mul_f32_dpp v154, v16, v154 row_newbcast:14 row_mask:0xf bank_mask:0xf// 0000000043A8: 0B3534FA FF015E10
	v_mul_f32_dpp v155, v16, v155 row_newbcast:15 row_mask:0xf bank_mask:0xf// 0000000043B0: 0B3736FA FF015F10
	v_cvt_f32_i32_e32 v156, v156                               // 0000000043B8: 7F380B9C
	v_cvt_f32_i32_e32 v157, v157                               // 0000000043BC: 7F3A0B9D
	v_cvt_f32_i32_e32 v158, v158                               // 0000000043C0: 7F3C0B9E
	v_cvt_f32_i32_e32 v159, v159                               // 0000000043C4: 7F3E0B9F
	v_mul_f32_e32 v156, v15, v156                              // 0000000043C8: 0B39390F
	v_mul_f32_e32 v157, v15, v157                              // 0000000043CC: 0B3B3B0F
	v_mul_f32_e32 v158, v15, v158                              // 0000000043D0: 0B3D3D0F
	v_mul_f32_e32 v159, v15, v159                              // 0000000043D4: 0B3F3F0F
	v_mul_f32_dpp v156, v16, v156 row_newbcast:12 row_mask:0xf bank_mask:0xf// 0000000043D8: 0B3938FA FF015C10
	v_mul_f32_dpp v157, v16, v157 row_newbcast:13 row_mask:0xf bank_mask:0xf// 0000000043E0: 0B3B3AFA FF015D10
	v_mul_f32_dpp v158, v16, v158 row_newbcast:14 row_mask:0xf bank_mask:0xf// 0000000043E8: 0B3D3CFA FF015E10
	v_mul_f32_dpp v159, v16, v159 row_newbcast:15 row_mask:0xf bank_mask:0xf// 0000000043F0: 0B3F3EFA FF015F10
	v_cvt_f32_i32_e32 v160, v160                               // 0000000043F8: 7F400BA0
	v_cvt_f32_i32_e32 v161, v161                               // 0000000043FC: 7F420BA1
	v_cvt_f32_i32_e32 v162, v162                               // 000000004400: 7F440BA2
	v_cvt_f32_i32_e32 v163, v163                               // 000000004404: 7F460BA3
	v_mul_f32_e32 v160, v14, v160                              // 000000004408: 0B41410E
	v_mul_f32_e32 v161, v14, v161                              // 00000000440C: 0B43430E
	v_mul_f32_e32 v162, v14, v162                              // 000000004410: 0B45450E
	v_mul_f32_e32 v163, v14, v163                              // 000000004414: 0B47470E
	v_mul_f32_dpp v160, v17, v160 row_newbcast:0 row_mask:0xf bank_mask:0xf// 000000004418: 0B4140FA FF015011
	v_mul_f32_dpp v161, v17, v161 row_newbcast:1 row_mask:0xf bank_mask:0xf// 000000004420: 0B4342FA FF015111
	v_mul_f32_dpp v162, v17, v162 row_newbcast:2 row_mask:0xf bank_mask:0xf// 000000004428: 0B4544FA FF015211
	v_mul_f32_dpp v163, v17, v163 row_newbcast:3 row_mask:0xf bank_mask:0xf// 000000004430: 0B4746FA FF015311
	v_cvt_f32_i32_e32 v164, v164                               // 000000004438: 7F480BA4
	v_cvt_f32_i32_e32 v165, v165                               // 00000000443C: 7F4A0BA5
	v_cvt_f32_i32_e32 v166, v166                               // 000000004440: 7F4C0BA6
	v_cvt_f32_i32_e32 v167, v167                               // 000000004444: 7F4E0BA7
	v_mul_f32_e32 v164, v15, v164                              // 000000004448: 0B49490F
	v_mul_f32_e32 v165, v15, v165                              // 00000000444C: 0B4B4B0F
	v_mul_f32_e32 v166, v15, v166                              // 000000004450: 0B4D4D0F
	v_mul_f32_e32 v167, v15, v167                              // 000000004454: 0B4F4F0F
	v_mul_f32_dpp v164, v17, v164 row_newbcast:0 row_mask:0xf bank_mask:0xf// 000000004458: 0B4948FA FF015011
	v_mul_f32_dpp v165, v17, v165 row_newbcast:1 row_mask:0xf bank_mask:0xf// 000000004460: 0B4B4AFA FF015111
	v_mul_f32_dpp v166, v17, v166 row_newbcast:2 row_mask:0xf bank_mask:0xf// 000000004468: 0B4D4CFA FF015211
	v_mul_f32_dpp v167, v17, v167 row_newbcast:3 row_mask:0xf bank_mask:0xf// 000000004470: 0B4F4EFA FF015311
	v_cvt_f32_i32_e32 v168, v168                               // 000000004478: 7F500BA8
	v_cvt_f32_i32_e32 v169, v169                               // 00000000447C: 7F520BA9
	v_cvt_f32_i32_e32 v170, v170                               // 000000004480: 7F540BAA
	v_cvt_f32_i32_e32 v171, v171                               // 000000004484: 7F560BAB
	v_mul_f32_e32 v168, v14, v168                              // 000000004488: 0B51510E
	v_mul_f32_e32 v169, v14, v169                              // 00000000448C: 0B53530E
	v_mul_f32_e32 v170, v14, v170                              // 000000004490: 0B55550E
	v_mul_f32_e32 v171, v14, v171                              // 000000004494: 0B57570E
	v_mul_f32_dpp v168, v17, v168 row_newbcast:4 row_mask:0xf bank_mask:0xf// 000000004498: 0B5150FA FF015411
	v_mul_f32_dpp v169, v17, v169 row_newbcast:5 row_mask:0xf bank_mask:0xf// 0000000044A0: 0B5352FA FF015511
	v_mul_f32_dpp v170, v17, v170 row_newbcast:6 row_mask:0xf bank_mask:0xf// 0000000044A8: 0B5554FA FF015611
	v_mul_f32_dpp v171, v17, v171 row_newbcast:7 row_mask:0xf bank_mask:0xf// 0000000044B0: 0B5756FA FF015711
	v_cvt_f32_i32_e32 v172, v172                               // 0000000044B8: 7F580BAC
	v_cvt_f32_i32_e32 v173, v173                               // 0000000044BC: 7F5A0BAD
	v_cvt_f32_i32_e32 v174, v174                               // 0000000044C0: 7F5C0BAE
	v_cvt_f32_i32_e32 v175, v175                               // 0000000044C4: 7F5E0BAF
	v_mul_f32_e32 v172, v15, v172                              // 0000000044C8: 0B59590F
	v_mul_f32_e32 v173, v15, v173                              // 0000000044CC: 0B5B5B0F
	v_mul_f32_e32 v174, v15, v174                              // 0000000044D0: 0B5D5D0F
	v_mul_f32_e32 v175, v15, v175                              // 0000000044D4: 0B5F5F0F
	v_mul_f32_dpp v172, v17, v172 row_newbcast:4 row_mask:0xf bank_mask:0xf// 0000000044D8: 0B5958FA FF015411
	v_mul_f32_dpp v173, v17, v173 row_newbcast:5 row_mask:0xf bank_mask:0xf// 0000000044E0: 0B5B5AFA FF015511
	v_mul_f32_dpp v174, v17, v174 row_newbcast:6 row_mask:0xf bank_mask:0xf// 0000000044E8: 0B5D5CFA FF015611
	v_mul_f32_dpp v175, v17, v175 row_newbcast:7 row_mask:0xf bank_mask:0xf// 0000000044F0: 0B5F5EFA FF015711
	s_waitcnt vmcnt(20)                                        // 0000000044F8: BF8C4F74
	buffer_load_dwordx4 a[0:3], v40, s[12:15], 0 offen         // 0000000044FC: E05C1000 80830028
	v_mul_f32_e32 v48, v128, v128                              // 000000004504: 0A610180
	v_mul_f32_e32 v49, v129, v129                              // 000000004508: 0A630381
	v_mul_f32_e32 v50, v130, v130                              // 00000000450C: 0A650582
	v_mul_f32_e32 v51, v131, v131                              // 000000004510: 0A670783
	v_fma_f32 v48, v48, s77, v1                                // 000000004514: D1CB0030 04049B30
	v_fma_f32 v49, v49, s77, v1                                // 00000000451C: D1CB0031 04049B31
	v_fma_f32 v50, v50, s77, v1                                // 000000004524: D1CB0032 04049B32
	v_fma_f32 v51, v51, s77, v1                                // 00000000452C: D1CB0033 04049B33
	v_mul_f32_e32 v48, v48, v128                               // 000000004534: 0A610130
	v_mul_f32_e32 v49, v49, v129                               // 000000004538: 0A630331
	v_mul_f32_e32 v50, v50, v130                               // 00000000453C: 0A650532
	v_mul_f32_e32 v51, v51, v131                               // 000000004540: 0A670733
	v_mul_f32_e64 v48, v48, s6                                 // 000000004544: D1050030 00000D30
	v_mul_f32_e64 v49, v49, s6                                 // 00000000454C: D1050031 00000D31
	v_mul_f32_e64 v50, v50, s6                                 // 000000004554: D1050032 00000D32
	v_mul_f32_e64 v51, v51, s6                                 // 00000000455C: D1050033 00000D33
	v_exp_f32_e32 v48, v48                                     // 000000004564: 7E604130
	v_exp_f32_e32 v49, v49                                     // 000000004568: 7E624131
	v_exp_f32_e32 v50, v50                                     // 00000000456C: 7E644132
	v_exp_f32_e32 v51, v51                                     // 000000004570: 7E664133
	buffer_load_dwordx4 a[4:7], v41, s[12:15], 0 offen         // 000000004574: E05C1000 80830429
	v_add_f32_e64 v48, v48, 1.0                                // 00000000457C: D1010030 0001E530
	v_add_f32_e64 v49, v49, 1.0                                // 000000004584: D1010031 0001E531
	v_add_f32_e64 v50, v50, 1.0                                // 00000000458C: D1010032 0001E532
	v_add_f32_e64 v51, v51, 1.0                                // 000000004594: D1010033 0001E533
	v_rcp_f32_e32 v48, v48                                     // 00000000459C: 7E604530
	v_rcp_f32_e32 v49, v49                                     // 0000000045A0: 7E624531
	v_rcp_f32_e32 v50, v50                                     // 0000000045A4: 7E644532
	v_rcp_f32_e32 v51, v51                                     // 0000000045A8: 7E664533
	v_mul_f32_e32 v128, v128, v48                              // 0000000045AC: 0B006180
	v_mul_f32_e32 v129, v129, v49                              // 0000000045B0: 0B026381
	v_mul_f32_e32 v130, v130, v50                              // 0000000045B4: 0B046582
	v_mul_f32_e32 v131, v131, v51                              // 0000000045B8: 0B066783
	buffer_load_dwordx4 a[8:11], v42, s[12:15], 0 offen        // 0000000045BC: E05C1000 8083082A
	v_mul_f32_e32 v48, v132, v132                              // 0000000045C4: 0A610984
	v_mul_f32_e32 v49, v133, v133                              // 0000000045C8: 0A630B85
	v_mul_f32_e32 v50, v134, v134                              // 0000000045CC: 0A650D86
	v_mul_f32_e32 v51, v135, v135                              // 0000000045D0: 0A670F87
	v_fma_f32 v48, v48, s77, v1                                // 0000000045D4: D1CB0030 04049B30
	v_fma_f32 v49, v49, s77, v1                                // 0000000045DC: D1CB0031 04049B31
	v_fma_f32 v50, v50, s77, v1                                // 0000000045E4: D1CB0032 04049B32
	v_fma_f32 v51, v51, s77, v1                                // 0000000045EC: D1CB0033 04049B33
	v_mul_f32_e32 v48, v48, v132                               // 0000000045F4: 0A610930
	v_mul_f32_e32 v49, v49, v133                               // 0000000045F8: 0A630B31
	v_mul_f32_e32 v50, v50, v134                               // 0000000045FC: 0A650D32
	v_mul_f32_e32 v51, v51, v135                               // 000000004600: 0A670F33
	v_mul_f32_e64 v48, v48, s6                                 // 000000004604: D1050030 00000D30
	v_mul_f32_e64 v49, v49, s6                                 // 00000000460C: D1050031 00000D31
	v_mul_f32_e64 v50, v50, s6                                 // 000000004614: D1050032 00000D32
	v_mul_f32_e64 v51, v51, s6                                 // 00000000461C: D1050033 00000D33
	v_exp_f32_e32 v48, v48                                     // 000000004624: 7E604130
	v_exp_f32_e32 v49, v49                                     // 000000004628: 7E624131
	v_exp_f32_e32 v50, v50                                     // 00000000462C: 7E644132
	v_exp_f32_e32 v51, v51                                     // 000000004630: 7E664133
	buffer_load_dwordx4 a[12:15], v43, s[12:15], 0 offen       // 000000004634: E05C1000 80830C2B
	s_add_u32 s12, s78, s12                                    // 00000000463C: 800C0C4E
	s_addc_u32 s13, 0, s13                                     // 000000004640: 820D0D80
	v_add_f32_e64 v48, v48, 1.0                                // 000000004644: D1010030 0001E530
	v_add_f32_e64 v49, v49, 1.0                                // 00000000464C: D1010031 0001E531
	v_add_f32_e64 v50, v50, 1.0                                // 000000004654: D1010032 0001E532
	v_add_f32_e64 v51, v51, 1.0                                // 00000000465C: D1010033 0001E533
	v_rcp_f32_e32 v48, v48                                     // 000000004664: 7E604530
	v_rcp_f32_e32 v49, v49                                     // 000000004668: 7E624531
	v_rcp_f32_e32 v50, v50                                     // 00000000466C: 7E644532
	v_rcp_f32_e32 v51, v51                                     // 000000004670: 7E664533
	v_mul_f32_e32 v132, v132, v48                              // 000000004674: 0B086184
	v_mul_f32_e32 v133, v133, v49                              // 000000004678: 0B0A6385
	v_mul_f32_e32 v134, v134, v50                              // 00000000467C: 0B0C6586
	v_mul_f32_e32 v135, v135, v51                              // 000000004680: 0B0E6787
	s_waitcnt vmcnt(20)                                        // 000000004684: BF8C4F74
	buffer_load_dwordx4 a[16:19], v40, s[12:15], 0 offen       // 000000004688: E05C1000 80831028
	v_mul_f32_e32 v48, v136, v136                              // 000000004690: 0A611188
	v_mul_f32_e32 v49, v137, v137                              // 000000004694: 0A631389
	v_mul_f32_e32 v50, v138, v138                              // 000000004698: 0A65158A
	v_mul_f32_e32 v51, v139, v139                              // 00000000469C: 0A67178B
	v_fma_f32 v48, v48, s77, v1                                // 0000000046A0: D1CB0030 04049B30
	v_fma_f32 v49, v49, s77, v1                                // 0000000046A8: D1CB0031 04049B31
	v_fma_f32 v50, v50, s77, v1                                // 0000000046B0: D1CB0032 04049B32
	v_fma_f32 v51, v51, s77, v1                                // 0000000046B8: D1CB0033 04049B33
	v_mul_f32_e32 v48, v48, v136                               // 0000000046C0: 0A611130
	v_mul_f32_e32 v49, v49, v137                               // 0000000046C4: 0A631331
	v_mul_f32_e32 v50, v50, v138                               // 0000000046C8: 0A651532
	v_mul_f32_e32 v51, v51, v139                               // 0000000046CC: 0A671733
	v_mul_f32_e64 v48, v48, s6                                 // 0000000046D0: D1050030 00000D30
	v_mul_f32_e64 v49, v49, s6                                 // 0000000046D8: D1050031 00000D31
	v_mul_f32_e64 v50, v50, s6                                 // 0000000046E0: D1050032 00000D32
	v_mul_f32_e64 v51, v51, s6                                 // 0000000046E8: D1050033 00000D33
	v_exp_f32_e32 v48, v48                                     // 0000000046F0: 7E604130
	v_exp_f32_e32 v49, v49                                     // 0000000046F4: 7E624131
	v_exp_f32_e32 v50, v50                                     // 0000000046F8: 7E644132
	v_exp_f32_e32 v51, v51                                     // 0000000046FC: 7E664133
	buffer_load_dwordx4 a[20:23], v41, s[12:15], 0 offen       // 000000004700: E05C1000 80831429
	v_add_f32_e64 v48, v48, 1.0                                // 000000004708: D1010030 0001E530
	v_add_f32_e64 v49, v49, 1.0                                // 000000004710: D1010031 0001E531
	v_add_f32_e64 v50, v50, 1.0                                // 000000004718: D1010032 0001E532
	v_add_f32_e64 v51, v51, 1.0                                // 000000004720: D1010033 0001E533
	v_rcp_f32_e32 v48, v48                                     // 000000004728: 7E604530
	v_rcp_f32_e32 v49, v49                                     // 00000000472C: 7E624531
	v_rcp_f32_e32 v50, v50                                     // 000000004730: 7E644532
	v_rcp_f32_e32 v51, v51                                     // 000000004734: 7E664533
	v_mul_f32_e32 v136, v136, v48                              // 000000004738: 0B106188
	v_mul_f32_e32 v137, v137, v49                              // 00000000473C: 0B126389
	v_mul_f32_e32 v138, v138, v50                              // 000000004740: 0B14658A
	v_mul_f32_e32 v139, v139, v51                              // 000000004744: 0B16678B
	buffer_load_dwordx4 a[24:27], v42, s[12:15], 0 offen       // 000000004748: E05C1000 8083182A
	v_mul_f32_e32 v48, v140, v140                              // 000000004750: 0A61198C
	v_mul_f32_e32 v49, v141, v141                              // 000000004754: 0A631B8D
	v_mul_f32_e32 v50, v142, v142                              // 000000004758: 0A651D8E
	v_mul_f32_e32 v51, v143, v143                              // 00000000475C: 0A671F8F
	v_fma_f32 v48, v48, s77, v1                                // 000000004760: D1CB0030 04049B30
	v_fma_f32 v49, v49, s77, v1                                // 000000004768: D1CB0031 04049B31
	v_fma_f32 v50, v50, s77, v1                                // 000000004770: D1CB0032 04049B32
	v_fma_f32 v51, v51, s77, v1                                // 000000004778: D1CB0033 04049B33
	v_mul_f32_e32 v48, v48, v140                               // 000000004780: 0A611930
	v_mul_f32_e32 v49, v49, v141                               // 000000004784: 0A631B31
	v_mul_f32_e32 v50, v50, v142                               // 000000004788: 0A651D32
	v_mul_f32_e32 v51, v51, v143                               // 00000000478C: 0A671F33
	v_mul_f32_e64 v48, v48, s6                                 // 000000004790: D1050030 00000D30
	v_mul_f32_e64 v49, v49, s6                                 // 000000004798: D1050031 00000D31
	v_mul_f32_e64 v50, v50, s6                                 // 0000000047A0: D1050032 00000D32
	v_mul_f32_e64 v51, v51, s6                                 // 0000000047A8: D1050033 00000D33
	v_exp_f32_e32 v48, v48                                     // 0000000047B0: 7E604130
	v_exp_f32_e32 v49, v49                                     // 0000000047B4: 7E624131
	v_exp_f32_e32 v50, v50                                     // 0000000047B8: 7E644132
	v_exp_f32_e32 v51, v51                                     // 0000000047BC: 7E664133
	buffer_load_dwordx4 a[28:31], v43, s[12:15], 0 offen       // 0000000047C0: E05C1000 80831C2B
	s_add_u32 s12, s78, s12                                    // 0000000047C8: 800C0C4E
	s_addc_u32 s13, 0, s13                                     // 0000000047CC: 820D0D80
	v_add_f32_e64 v48, v48, 1.0                                // 0000000047D0: D1010030 0001E530
	v_add_f32_e64 v49, v49, 1.0                                // 0000000047D8: D1010031 0001E531
	v_add_f32_e64 v50, v50, 1.0                                // 0000000047E0: D1010032 0001E532
	v_add_f32_e64 v51, v51, 1.0                                // 0000000047E8: D1010033 0001E533
	v_rcp_f32_e32 v48, v48                                     // 0000000047F0: 7E604530
	v_rcp_f32_e32 v49, v49                                     // 0000000047F4: 7E624531
	v_rcp_f32_e32 v50, v50                                     // 0000000047F8: 7E644532
	v_rcp_f32_e32 v51, v51                                     // 0000000047FC: 7E664533
	v_mul_f32_e32 v140, v140, v48                              // 000000004800: 0B18618C
	v_mul_f32_e32 v141, v141, v49                              // 000000004804: 0B1A638D
	v_mul_f32_e32 v142, v142, v50                              // 000000004808: 0B1C658E
	v_mul_f32_e32 v143, v143, v51                              // 00000000480C: 0B1E678F
	s_waitcnt vmcnt(20)                                        // 000000004810: BF8C4F74
	buffer_load_dwordx4 a[32:35], v40, s[12:15], 0 offen       // 000000004814: E05C1000 80832028
	v_mul_f32_e32 v48, v144, v144                              // 00000000481C: 0A612190
	v_mul_f32_e32 v49, v145, v145                              // 000000004820: 0A632391
	v_mul_f32_e32 v50, v146, v146                              // 000000004824: 0A652592
	v_mul_f32_e32 v51, v147, v147                              // 000000004828: 0A672793
	v_fma_f32 v48, v48, s77, v1                                // 00000000482C: D1CB0030 04049B30
	v_fma_f32 v49, v49, s77, v1                                // 000000004834: D1CB0031 04049B31
	v_fma_f32 v50, v50, s77, v1                                // 00000000483C: D1CB0032 04049B32
	v_fma_f32 v51, v51, s77, v1                                // 000000004844: D1CB0033 04049B33
	v_mul_f32_e32 v48, v48, v144                               // 00000000484C: 0A612130
	v_mul_f32_e32 v49, v49, v145                               // 000000004850: 0A632331
	v_mul_f32_e32 v50, v50, v146                               // 000000004854: 0A652532
	v_mul_f32_e32 v51, v51, v147                               // 000000004858: 0A672733
	v_mul_f32_e64 v48, v48, s6                                 // 00000000485C: D1050030 00000D30
	v_mul_f32_e64 v49, v49, s6                                 // 000000004864: D1050031 00000D31
	v_mul_f32_e64 v50, v50, s6                                 // 00000000486C: D1050032 00000D32
	v_mul_f32_e64 v51, v51, s6                                 // 000000004874: D1050033 00000D33
	v_exp_f32_e32 v48, v48                                     // 00000000487C: 7E604130
	v_exp_f32_e32 v49, v49                                     // 000000004880: 7E624131
	v_exp_f32_e32 v50, v50                                     // 000000004884: 7E644132
	v_exp_f32_e32 v51, v51                                     // 000000004888: 7E664133
	buffer_load_dwordx4 a[36:39], v41, s[12:15], 0 offen       // 00000000488C: E05C1000 80832429
	v_add_f32_e64 v48, v48, 1.0                                // 000000004894: D1010030 0001E530
	v_add_f32_e64 v49, v49, 1.0                                // 00000000489C: D1010031 0001E531
	v_add_f32_e64 v50, v50, 1.0                                // 0000000048A4: D1010032 0001E532
	v_add_f32_e64 v51, v51, 1.0                                // 0000000048AC: D1010033 0001E533
	v_rcp_f32_e32 v48, v48                                     // 0000000048B4: 7E604530
	v_rcp_f32_e32 v49, v49                                     // 0000000048B8: 7E624531
	v_rcp_f32_e32 v50, v50                                     // 0000000048BC: 7E644532
	v_rcp_f32_e32 v51, v51                                     // 0000000048C0: 7E664533
	v_mul_f32_e32 v144, v144, v48                              // 0000000048C4: 0B206190
	v_mul_f32_e32 v145, v145, v49                              // 0000000048C8: 0B226391
	v_mul_f32_e32 v146, v146, v50                              // 0000000048CC: 0B246592
	v_mul_f32_e32 v147, v147, v51                              // 0000000048D0: 0B266793
	buffer_load_dwordx4 a[40:43], v42, s[12:15], 0 offen       // 0000000048D4: E05C1000 8083282A
	v_mul_f32_e32 v48, v148, v148                              // 0000000048DC: 0A612994
	v_mul_f32_e32 v49, v149, v149                              // 0000000048E0: 0A632B95
	v_mul_f32_e32 v50, v150, v150                              // 0000000048E4: 0A652D96
	v_mul_f32_e32 v51, v151, v151                              // 0000000048E8: 0A672F97
	v_fma_f32 v48, v48, s77, v1                                // 0000000048EC: D1CB0030 04049B30
	v_fma_f32 v49, v49, s77, v1                                // 0000000048F4: D1CB0031 04049B31
	v_fma_f32 v50, v50, s77, v1                                // 0000000048FC: D1CB0032 04049B32
	v_fma_f32 v51, v51, s77, v1                                // 000000004904: D1CB0033 04049B33
	v_mul_f32_e32 v48, v48, v148                               // 00000000490C: 0A612930
	v_mul_f32_e32 v49, v49, v149                               // 000000004910: 0A632B31
	v_mul_f32_e32 v50, v50, v150                               // 000000004914: 0A652D32
	v_mul_f32_e32 v51, v51, v151                               // 000000004918: 0A672F33
	v_mul_f32_e64 v48, v48, s6                                 // 00000000491C: D1050030 00000D30
	v_mul_f32_e64 v49, v49, s6                                 // 000000004924: D1050031 00000D31
	v_mul_f32_e64 v50, v50, s6                                 // 00000000492C: D1050032 00000D32
	v_mul_f32_e64 v51, v51, s6                                 // 000000004934: D1050033 00000D33
	v_exp_f32_e32 v48, v48                                     // 00000000493C: 7E604130
	v_exp_f32_e32 v49, v49                                     // 000000004940: 7E624131
	v_exp_f32_e32 v50, v50                                     // 000000004944: 7E644132
	v_exp_f32_e32 v51, v51                                     // 000000004948: 7E664133
	buffer_load_dwordx4 a[44:47], v43, s[12:15], 0 offen       // 00000000494C: E05C1000 80832C2B
	s_add_u32 s12, s78, s12                                    // 000000004954: 800C0C4E
	s_addc_u32 s13, 0, s13                                     // 000000004958: 820D0D80
	v_add_f32_e64 v48, v48, 1.0                                // 00000000495C: D1010030 0001E530
	v_add_f32_e64 v49, v49, 1.0                                // 000000004964: D1010031 0001E531
	v_add_f32_e64 v50, v50, 1.0                                // 00000000496C: D1010032 0001E532
	v_add_f32_e64 v51, v51, 1.0                                // 000000004974: D1010033 0001E533
	v_rcp_f32_e32 v48, v48                                     // 00000000497C: 7E604530
	v_rcp_f32_e32 v49, v49                                     // 000000004980: 7E624531
	v_rcp_f32_e32 v50, v50                                     // 000000004984: 7E644532
	v_rcp_f32_e32 v51, v51                                     // 000000004988: 7E664533
	v_mul_f32_e32 v148, v148, v48                              // 00000000498C: 0B286194
	v_mul_f32_e32 v149, v149, v49                              // 000000004990: 0B2A6395
	v_mul_f32_e32 v150, v150, v50                              // 000000004994: 0B2C6596
	v_mul_f32_e32 v151, v151, v51                              // 000000004998: 0B2E6797
	s_waitcnt vmcnt(20)                                        // 00000000499C: BF8C4F74
	buffer_load_dwordx4 a[48:51], v40, s[12:15], 0 offen       // 0000000049A0: E05C1000 80833028
	v_mul_f32_e32 v48, v152, v152                              // 0000000049A8: 0A613198
	v_mul_f32_e32 v49, v153, v153                              // 0000000049AC: 0A633399
	v_mul_f32_e32 v50, v154, v154                              // 0000000049B0: 0A65359A
	v_mul_f32_e32 v51, v155, v155                              // 0000000049B4: 0A67379B
	v_fma_f32 v48, v48, s77, v1                                // 0000000049B8: D1CB0030 04049B30
	v_fma_f32 v49, v49, s77, v1                                // 0000000049C0: D1CB0031 04049B31
	v_fma_f32 v50, v50, s77, v1                                // 0000000049C8: D1CB0032 04049B32
	v_fma_f32 v51, v51, s77, v1                                // 0000000049D0: D1CB0033 04049B33
	v_mul_f32_e32 v48, v48, v152                               // 0000000049D8: 0A613130
	v_mul_f32_e32 v49, v49, v153                               // 0000000049DC: 0A633331
	v_mul_f32_e32 v50, v50, v154                               // 0000000049E0: 0A653532
	v_mul_f32_e32 v51, v51, v155                               // 0000000049E4: 0A673733
	v_mul_f32_e64 v48, v48, s6                                 // 0000000049E8: D1050030 00000D30
	v_mul_f32_e64 v49, v49, s6                                 // 0000000049F0: D1050031 00000D31
	v_mul_f32_e64 v50, v50, s6                                 // 0000000049F8: D1050032 00000D32
	v_mul_f32_e64 v51, v51, s6                                 // 000000004A00: D1050033 00000D33
	v_exp_f32_e32 v48, v48                                     // 000000004A08: 7E604130
	v_exp_f32_e32 v49, v49                                     // 000000004A0C: 7E624131
	v_exp_f32_e32 v50, v50                                     // 000000004A10: 7E644132
	v_exp_f32_e32 v51, v51                                     // 000000004A14: 7E664133
	buffer_load_dwordx4 a[52:55], v41, s[12:15], 0 offen       // 000000004A18: E05C1000 80833429
	v_add_f32_e64 v48, v48, 1.0                                // 000000004A20: D1010030 0001E530
	v_add_f32_e64 v49, v49, 1.0                                // 000000004A28: D1010031 0001E531
	v_add_f32_e64 v50, v50, 1.0                                // 000000004A30: D1010032 0001E532
	v_add_f32_e64 v51, v51, 1.0                                // 000000004A38: D1010033 0001E533
	v_rcp_f32_e32 v48, v48                                     // 000000004A40: 7E604530
	v_rcp_f32_e32 v49, v49                                     // 000000004A44: 7E624531
	v_rcp_f32_e32 v50, v50                                     // 000000004A48: 7E644532
	v_rcp_f32_e32 v51, v51                                     // 000000004A4C: 7E664533
	v_mul_f32_e32 v152, v152, v48                              // 000000004A50: 0B306198
	v_mul_f32_e32 v153, v153, v49                              // 000000004A54: 0B326399
	v_mul_f32_e32 v154, v154, v50                              // 000000004A58: 0B34659A
	v_mul_f32_e32 v155, v155, v51                              // 000000004A5C: 0B36679B
	buffer_load_dwordx4 a[56:59], v42, s[12:15], 0 offen       // 000000004A60: E05C1000 8083382A
	v_mul_f32_e32 v48, v156, v156                              // 000000004A68: 0A61399C
	v_mul_f32_e32 v49, v157, v157                              // 000000004A6C: 0A633B9D
	v_mul_f32_e32 v50, v158, v158                              // 000000004A70: 0A653D9E
	v_mul_f32_e32 v51, v159, v159                              // 000000004A74: 0A673F9F
	v_fma_f32 v48, v48, s77, v1                                // 000000004A78: D1CB0030 04049B30
	v_fma_f32 v49, v49, s77, v1                                // 000000004A80: D1CB0031 04049B31
	v_fma_f32 v50, v50, s77, v1                                // 000000004A88: D1CB0032 04049B32
	v_fma_f32 v51, v51, s77, v1                                // 000000004A90: D1CB0033 04049B33
	v_mul_f32_e32 v48, v48, v156                               // 000000004A98: 0A613930
	v_mul_f32_e32 v49, v49, v157                               // 000000004A9C: 0A633B31
	v_mul_f32_e32 v50, v50, v158                               // 000000004AA0: 0A653D32
	v_mul_f32_e32 v51, v51, v159                               // 000000004AA4: 0A673F33
	v_mul_f32_e64 v48, v48, s6                                 // 000000004AA8: D1050030 00000D30
	v_mul_f32_e64 v49, v49, s6                                 // 000000004AB0: D1050031 00000D31
	v_mul_f32_e64 v50, v50, s6                                 // 000000004AB8: D1050032 00000D32
	v_mul_f32_e64 v51, v51, s6                                 // 000000004AC0: D1050033 00000D33
	v_exp_f32_e32 v48, v48                                     // 000000004AC8: 7E604130
	v_exp_f32_e32 v49, v49                                     // 000000004ACC: 7E624131
	v_exp_f32_e32 v50, v50                                     // 000000004AD0: 7E644132
	v_exp_f32_e32 v51, v51                                     // 000000004AD4: 7E664133
	buffer_load_dwordx4 a[60:63], v43, s[12:15], 0 offen       // 000000004AD8: E05C1000 80833C2B
	s_add_u32 s12, s78, s12                                    // 000000004AE0: 800C0C4E
	s_addc_u32 s13, 0, s13                                     // 000000004AE4: 820D0D80
	v_add_f32_e64 v48, v48, 1.0                                // 000000004AE8: D1010030 0001E530
	v_add_f32_e64 v49, v49, 1.0                                // 000000004AF0: D1010031 0001E531
	v_add_f32_e64 v50, v50, 1.0                                // 000000004AF8: D1010032 0001E532
	v_add_f32_e64 v51, v51, 1.0                                // 000000004B00: D1010033 0001E533
	v_rcp_f32_e32 v48, v48                                     // 000000004B08: 7E604530
	v_rcp_f32_e32 v49, v49                                     // 000000004B0C: 7E624531
	v_rcp_f32_e32 v50, v50                                     // 000000004B10: 7E644532
	v_rcp_f32_e32 v51, v51                                     // 000000004B14: 7E664533
	v_mul_f32_e32 v156, v156, v48                              // 000000004B18: 0B38619C
	v_mul_f32_e32 v157, v157, v49                              // 000000004B1C: 0B3A639D
	v_mul_f32_e32 v158, v158, v50                              // 000000004B20: 0B3C659E
	v_mul_f32_e32 v159, v159, v51                              // 000000004B24: 0B3E679F
	s_waitcnt vmcnt(20)                                        // 000000004B28: BF8C4F74
	buffer_load_dwordx4 a[64:67], v40, s[12:15], 0 offen       // 000000004B2C: E05C1000 80834028
	v_mul_f32_e32 v48, v160, v160                              // 000000004B34: 0A6141A0
	v_mul_f32_e32 v49, v161, v161                              // 000000004B38: 0A6343A1
	v_mul_f32_e32 v50, v162, v162                              // 000000004B3C: 0A6545A2
	v_mul_f32_e32 v51, v163, v163                              // 000000004B40: 0A6747A3
	v_fma_f32 v48, v48, s77, v1                                // 000000004B44: D1CB0030 04049B30
	v_fma_f32 v49, v49, s77, v1                                // 000000004B4C: D1CB0031 04049B31
	v_fma_f32 v50, v50, s77, v1                                // 000000004B54: D1CB0032 04049B32
	v_fma_f32 v51, v51, s77, v1                                // 000000004B5C: D1CB0033 04049B33
	v_mul_f32_e32 v48, v48, v160                               // 000000004B64: 0A614130
	v_mul_f32_e32 v49, v49, v161                               // 000000004B68: 0A634331
	v_mul_f32_e32 v50, v50, v162                               // 000000004B6C: 0A654532
	v_mul_f32_e32 v51, v51, v163                               // 000000004B70: 0A674733
	v_mul_f32_e64 v48, v48, s6                                 // 000000004B74: D1050030 00000D30
	v_mul_f32_e64 v49, v49, s6                                 // 000000004B7C: D1050031 00000D31
	v_mul_f32_e64 v50, v50, s6                                 // 000000004B84: D1050032 00000D32
	v_mul_f32_e64 v51, v51, s6                                 // 000000004B8C: D1050033 00000D33
	v_exp_f32_e32 v48, v48                                     // 000000004B94: 7E604130
	v_exp_f32_e32 v49, v49                                     // 000000004B98: 7E624131
	v_exp_f32_e32 v50, v50                                     // 000000004B9C: 7E644132
	v_exp_f32_e32 v51, v51                                     // 000000004BA0: 7E664133
	buffer_load_dwordx4 a[68:71], v41, s[12:15], 0 offen       // 000000004BA4: E05C1000 80834429
	v_add_f32_e64 v48, v48, 1.0                                // 000000004BAC: D1010030 0001E530
	v_add_f32_e64 v49, v49, 1.0                                // 000000004BB4: D1010031 0001E531
	v_add_f32_e64 v50, v50, 1.0                                // 000000004BBC: D1010032 0001E532
	v_add_f32_e64 v51, v51, 1.0                                // 000000004BC4: D1010033 0001E533
	v_rcp_f32_e32 v48, v48                                     // 000000004BCC: 7E604530
	v_rcp_f32_e32 v49, v49                                     // 000000004BD0: 7E624531
	v_rcp_f32_e32 v50, v50                                     // 000000004BD4: 7E644532
	v_rcp_f32_e32 v51, v51                                     // 000000004BD8: 7E664533
	v_mul_f32_e32 v160, v160, v48                              // 000000004BDC: 0B4061A0
	v_mul_f32_e32 v161, v161, v49                              // 000000004BE0: 0B4263A1
	v_mul_f32_e32 v162, v162, v50                              // 000000004BE4: 0B4465A2
	v_mul_f32_e32 v163, v163, v51                              // 000000004BE8: 0B4667A3
	buffer_load_dwordx4 a[72:75], v42, s[12:15], 0 offen       // 000000004BEC: E05C1000 8083482A
	v_mul_f32_e32 v48, v164, v164                              // 000000004BF4: 0A6149A4
	v_mul_f32_e32 v49, v165, v165                              // 000000004BF8: 0A634BA5
	v_mul_f32_e32 v50, v166, v166                              // 000000004BFC: 0A654DA6
	v_mul_f32_e32 v51, v167, v167                              // 000000004C00: 0A674FA7
	v_fma_f32 v48, v48, s77, v1                                // 000000004C04: D1CB0030 04049B30
	v_fma_f32 v49, v49, s77, v1                                // 000000004C0C: D1CB0031 04049B31
	v_fma_f32 v50, v50, s77, v1                                // 000000004C14: D1CB0032 04049B32
	v_fma_f32 v51, v51, s77, v1                                // 000000004C1C: D1CB0033 04049B33
	v_mul_f32_e32 v48, v48, v164                               // 000000004C24: 0A614930
	v_mul_f32_e32 v49, v49, v165                               // 000000004C28: 0A634B31
	v_mul_f32_e32 v50, v50, v166                               // 000000004C2C: 0A654D32
	v_mul_f32_e32 v51, v51, v167                               // 000000004C30: 0A674F33
	v_mul_f32_e64 v48, v48, s6                                 // 000000004C34: D1050030 00000D30
	v_mul_f32_e64 v49, v49, s6                                 // 000000004C3C: D1050031 00000D31
	v_mul_f32_e64 v50, v50, s6                                 // 000000004C44: D1050032 00000D32
	v_mul_f32_e64 v51, v51, s6                                 // 000000004C4C: D1050033 00000D33
	v_exp_f32_e32 v48, v48                                     // 000000004C54: 7E604130
	v_exp_f32_e32 v49, v49                                     // 000000004C58: 7E624131
	v_exp_f32_e32 v50, v50                                     // 000000004C5C: 7E644132
	v_exp_f32_e32 v51, v51                                     // 000000004C60: 7E664133
	buffer_load_dwordx4 a[76:79], v43, s[12:15], 0 offen       // 000000004C64: E05C1000 80834C2B
	s_add_u32 s12, s78, s12                                    // 000000004C6C: 800C0C4E
	s_addc_u32 s13, 0, s13                                     // 000000004C70: 820D0D80
	v_add_f32_e64 v48, v48, 1.0                                // 000000004C74: D1010030 0001E530
	v_add_f32_e64 v49, v49, 1.0                                // 000000004C7C: D1010031 0001E531
	v_add_f32_e64 v50, v50, 1.0                                // 000000004C84: D1010032 0001E532
	v_add_f32_e64 v51, v51, 1.0                                // 000000004C8C: D1010033 0001E533
	v_rcp_f32_e32 v48, v48                                     // 000000004C94: 7E604530
	v_rcp_f32_e32 v49, v49                                     // 000000004C98: 7E624531
	v_rcp_f32_e32 v50, v50                                     // 000000004C9C: 7E644532
	v_rcp_f32_e32 v51, v51                                     // 000000004CA0: 7E664533
	v_mul_f32_e32 v164, v164, v48                              // 000000004CA4: 0B4861A4
	v_mul_f32_e32 v165, v165, v49                              // 000000004CA8: 0B4A63A5
	v_mul_f32_e32 v166, v166, v50                              // 000000004CAC: 0B4C65A6
	v_mul_f32_e32 v167, v167, v51                              // 000000004CB0: 0B4E67A7
	s_waitcnt vmcnt(20)                                        // 000000004CB4: BF8C4F74
	buffer_load_dwordx4 a[80:83], v40, s[12:15], 0 offen       // 000000004CB8: E05C1000 80835028
	v_mul_f32_e32 v48, v168, v168                              // 000000004CC0: 0A6151A8
	v_mul_f32_e32 v49, v169, v169                              // 000000004CC4: 0A6353A9
	v_mul_f32_e32 v50, v170, v170                              // 000000004CC8: 0A6555AA
	v_mul_f32_e32 v51, v171, v171                              // 000000004CCC: 0A6757AB
	v_fma_f32 v48, v48, s77, v1                                // 000000004CD0: D1CB0030 04049B30
	v_fma_f32 v49, v49, s77, v1                                // 000000004CD8: D1CB0031 04049B31
	v_fma_f32 v50, v50, s77, v1                                // 000000004CE0: D1CB0032 04049B32
	v_fma_f32 v51, v51, s77, v1                                // 000000004CE8: D1CB0033 04049B33
	v_mul_f32_e32 v48, v48, v168                               // 000000004CF0: 0A615130
	v_mul_f32_e32 v49, v49, v169                               // 000000004CF4: 0A635331
	v_mul_f32_e32 v50, v50, v170                               // 000000004CF8: 0A655532
	v_mul_f32_e32 v51, v51, v171                               // 000000004CFC: 0A675733
	v_mul_f32_e64 v48, v48, s6                                 // 000000004D00: D1050030 00000D30
	v_mul_f32_e64 v49, v49, s6                                 // 000000004D08: D1050031 00000D31
	v_mul_f32_e64 v50, v50, s6                                 // 000000004D10: D1050032 00000D32
	v_mul_f32_e64 v51, v51, s6                                 // 000000004D18: D1050033 00000D33
	v_exp_f32_e32 v48, v48                                     // 000000004D20: 7E604130
	v_exp_f32_e32 v49, v49                                     // 000000004D24: 7E624131
	v_exp_f32_e32 v50, v50                                     // 000000004D28: 7E644132
	v_exp_f32_e32 v51, v51                                     // 000000004D2C: 7E664133
	buffer_load_dwordx4 a[84:87], v41, s[12:15], 0 offen       // 000000004D30: E05C1000 80835429
	v_add_f32_e64 v48, v48, 1.0                                // 000000004D38: D1010030 0001E530
	v_add_f32_e64 v49, v49, 1.0                                // 000000004D40: D1010031 0001E531
	v_add_f32_e64 v50, v50, 1.0                                // 000000004D48: D1010032 0001E532
	v_add_f32_e64 v51, v51, 1.0                                // 000000004D50: D1010033 0001E533
	v_rcp_f32_e32 v48, v48                                     // 000000004D58: 7E604530
	v_rcp_f32_e32 v49, v49                                     // 000000004D5C: 7E624531
	v_rcp_f32_e32 v50, v50                                     // 000000004D60: 7E644532
	v_rcp_f32_e32 v51, v51                                     // 000000004D64: 7E664533
	v_mul_f32_e32 v168, v168, v48                              // 000000004D68: 0B5061A8
	v_mul_f32_e32 v169, v169, v49                              // 000000004D6C: 0B5263A9
	v_mul_f32_e32 v170, v170, v50                              // 000000004D70: 0B5465AA
	v_mul_f32_e32 v171, v171, v51                              // 000000004D74: 0B5667AB
	buffer_load_dwordx4 a[88:91], v42, s[12:15], 0 offen       // 000000004D78: E05C1000 8083582A
	v_mul_f32_e32 v48, v172, v172                              // 000000004D80: 0A6159AC
	v_mul_f32_e32 v49, v173, v173                              // 000000004D84: 0A635BAD
	v_mul_f32_e32 v50, v174, v174                              // 000000004D88: 0A655DAE
	v_mul_f32_e32 v51, v175, v175                              // 000000004D8C: 0A675FAF
	v_fma_f32 v48, v48, s77, v1                                // 000000004D90: D1CB0030 04049B30
	v_fma_f32 v49, v49, s77, v1                                // 000000004D98: D1CB0031 04049B31
	v_fma_f32 v50, v50, s77, v1                                // 000000004DA0: D1CB0032 04049B32
	v_fma_f32 v51, v51, s77, v1                                // 000000004DA8: D1CB0033 04049B33
	v_mul_f32_e32 v48, v48, v172                               // 000000004DB0: 0A615930
	v_mul_f32_e32 v49, v49, v173                               // 000000004DB4: 0A635B31
	v_mul_f32_e32 v50, v50, v174                               // 000000004DB8: 0A655D32
	v_mul_f32_e32 v51, v51, v175                               // 000000004DBC: 0A675F33
	v_mul_f32_e64 v48, v48, s6                                 // 000000004DC0: D1050030 00000D30
	v_mul_f32_e64 v49, v49, s6                                 // 000000004DC8: D1050031 00000D31
	v_mul_f32_e64 v50, v50, s6                                 // 000000004DD0: D1050032 00000D32
	v_mul_f32_e64 v51, v51, s6                                 // 000000004DD8: D1050033 00000D33
	v_exp_f32_e32 v48, v48                                     // 000000004DE0: 7E604130
	v_exp_f32_e32 v49, v49                                     // 000000004DE4: 7E624131
	v_exp_f32_e32 v50, v50                                     // 000000004DE8: 7E644132
	v_exp_f32_e32 v51, v51                                     // 000000004DEC: 7E664133
	buffer_load_dwordx4 a[92:95], v43, s[12:15], 0 offen       // 000000004DF0: E05C1000 80835C2B
	v_add_f32_e64 v48, v48, 1.0                                // 000000004DF8: D1010030 0001E530
	v_add_f32_e64 v49, v49, 1.0                                // 000000004E00: D1010031 0001E531
	v_add_f32_e64 v50, v50, 1.0                                // 000000004E08: D1010032 0001E532
	v_add_f32_e64 v51, v51, 1.0                                // 000000004E10: D1010033 0001E533
	v_rcp_f32_e32 v48, v48                                     // 000000004E18: 7E604530
	v_rcp_f32_e32 v49, v49                                     // 000000004E1C: 7E624531
	v_rcp_f32_e32 v50, v50                                     // 000000004E20: 7E644532
	v_rcp_f32_e32 v51, v51                                     // 000000004E24: 7E664533
	v_mul_f32_e32 v172, v172, v48                              // 000000004E28: 0B5861AC
	v_mul_f32_e32 v173, v173, v49                              // 000000004E2C: 0B5A63AD
	v_mul_f32_e32 v174, v174, v50                              // 000000004E30: 0B5C65AE
	v_mul_f32_e32 v175, v175, v51                              // 000000004E34: 0B5E67AF
	v_mul_f32_dpp v128, v18, v128 row_newbcast:0 row_mask:0xf bank_mask:0xf// 000000004E38: 0B0100FA FF015012
	v_mul_f32_dpp v129, v18, v129 row_newbcast:1 row_mask:0xf bank_mask:0xf// 000000004E40: 0B0302FA FF015112
	v_mul_f32_dpp v130, v18, v130 row_newbcast:2 row_mask:0xf bank_mask:0xf// 000000004E48: 0B0504FA FF015212
	v_mul_f32_dpp v131, v18, v131 row_newbcast:3 row_mask:0xf bank_mask:0xf// 000000004E50: 0B0706FA FF015312
	v_mul_f32_dpp v132, v18, v132 row_newbcast:0 row_mask:0xf bank_mask:0xf// 000000004E58: 0B0908FA FF015012
	v_mul_f32_dpp v133, v18, v133 row_newbcast:1 row_mask:0xf bank_mask:0xf// 000000004E60: 0B0B0AFA FF015112
	v_mul_f32_dpp v134, v18, v134 row_newbcast:2 row_mask:0xf bank_mask:0xf// 000000004E68: 0B0D0CFA FF015212
	v_mul_f32_dpp v135, v18, v135 row_newbcast:3 row_mask:0xf bank_mask:0xf// 000000004E70: 0B0F0EFA FF015312
	v_mul_f32_dpp v136, v18, v136 row_newbcast:4 row_mask:0xf bank_mask:0xf// 000000004E78: 0B1110FA FF015412
	v_mul_f32_dpp v137, v18, v137 row_newbcast:5 row_mask:0xf bank_mask:0xf// 000000004E80: 0B1312FA FF015512
	v_mul_f32_dpp v138, v18, v138 row_newbcast:6 row_mask:0xf bank_mask:0xf// 000000004E88: 0B1514FA FF015612
	v_mul_f32_dpp v139, v18, v139 row_newbcast:7 row_mask:0xf bank_mask:0xf// 000000004E90: 0B1716FA FF015712
	v_mul_f32_dpp v140, v18, v140 row_newbcast:4 row_mask:0xf bank_mask:0xf// 000000004E98: 0B1918FA FF015412
	v_mul_f32_dpp v141, v18, v141 row_newbcast:5 row_mask:0xf bank_mask:0xf// 000000004EA0: 0B1B1AFA FF015512
	v_mul_f32_dpp v142, v18, v142 row_newbcast:6 row_mask:0xf bank_mask:0xf// 000000004EA8: 0B1D1CFA FF015612
	v_mul_f32_dpp v143, v18, v143 row_newbcast:7 row_mask:0xf bank_mask:0xf// 000000004EB0: 0B1F1EFA FF015712
	v_mul_f32_dpp v144, v18, v144 row_newbcast:8 row_mask:0xf bank_mask:0xf// 000000004EB8: 0B2120FA FF015812
	v_mul_f32_dpp v145, v18, v145 row_newbcast:9 row_mask:0xf bank_mask:0xf// 000000004EC0: 0B2322FA FF015912
	v_mul_f32_dpp v146, v18, v146 row_newbcast:10 row_mask:0xf bank_mask:0xf// 000000004EC8: 0B2524FA FF015A12
	v_mul_f32_dpp v147, v18, v147 row_newbcast:11 row_mask:0xf bank_mask:0xf// 000000004ED0: 0B2726FA FF015B12
	v_mul_f32_dpp v148, v18, v148 row_newbcast:8 row_mask:0xf bank_mask:0xf// 000000004ED8: 0B2928FA FF015812
	v_mul_f32_dpp v149, v18, v149 row_newbcast:9 row_mask:0xf bank_mask:0xf// 000000004EE0: 0B2B2AFA FF015912
	v_mul_f32_dpp v150, v18, v150 row_newbcast:10 row_mask:0xf bank_mask:0xf// 000000004EE8: 0B2D2CFA FF015A12
	v_mul_f32_dpp v151, v18, v151 row_newbcast:11 row_mask:0xf bank_mask:0xf// 000000004EF0: 0B2F2EFA FF015B12
	v_mul_f32_dpp v152, v18, v152 row_newbcast:12 row_mask:0xf bank_mask:0xf// 000000004EF8: 0B3130FA FF015C12
	v_mul_f32_dpp v153, v18, v153 row_newbcast:13 row_mask:0xf bank_mask:0xf// 000000004F00: 0B3332FA FF015D12
	v_mul_f32_dpp v154, v18, v154 row_newbcast:14 row_mask:0xf bank_mask:0xf// 000000004F08: 0B3534FA FF015E12
	v_mul_f32_dpp v155, v18, v155 row_newbcast:15 row_mask:0xf bank_mask:0xf// 000000004F10: 0B3736FA FF015F12
	v_mul_f32_dpp v156, v18, v156 row_newbcast:12 row_mask:0xf bank_mask:0xf// 000000004F18: 0B3938FA FF015C12
	v_mul_f32_dpp v157, v18, v157 row_newbcast:13 row_mask:0xf bank_mask:0xf// 000000004F20: 0B3B3AFA FF015D12
	v_mul_f32_dpp v158, v18, v158 row_newbcast:14 row_mask:0xf bank_mask:0xf// 000000004F28: 0B3D3CFA FF015E12
	v_mul_f32_dpp v159, v18, v159 row_newbcast:15 row_mask:0xf bank_mask:0xf// 000000004F30: 0B3F3EFA FF015F12
	v_mul_f32_dpp v160, v19, v160 row_newbcast:0 row_mask:0xf bank_mask:0xf// 000000004F38: 0B4140FA FF015013
	v_mul_f32_dpp v161, v19, v161 row_newbcast:1 row_mask:0xf bank_mask:0xf// 000000004F40: 0B4342FA FF015113
	v_mul_f32_dpp v162, v19, v162 row_newbcast:2 row_mask:0xf bank_mask:0xf// 000000004F48: 0B4544FA FF015213
	v_mul_f32_dpp v163, v19, v163 row_newbcast:3 row_mask:0xf bank_mask:0xf// 000000004F50: 0B4746FA FF015313
	v_mul_f32_dpp v164, v19, v164 row_newbcast:0 row_mask:0xf bank_mask:0xf// 000000004F58: 0B4948FA FF015013
	v_mul_f32_dpp v165, v19, v165 row_newbcast:1 row_mask:0xf bank_mask:0xf// 000000004F60: 0B4B4AFA FF015113
	v_mul_f32_dpp v166, v19, v166 row_newbcast:2 row_mask:0xf bank_mask:0xf// 000000004F68: 0B4D4CFA FF015213
	v_mul_f32_dpp v167, v19, v167 row_newbcast:3 row_mask:0xf bank_mask:0xf// 000000004F70: 0B4F4EFA FF015313
	v_mul_f32_dpp v168, v19, v168 row_newbcast:4 row_mask:0xf bank_mask:0xf// 000000004F78: 0B5150FA FF015413
	v_mul_f32_dpp v169, v19, v169 row_newbcast:5 row_mask:0xf bank_mask:0xf// 000000004F80: 0B5352FA FF015513
	v_mul_f32_dpp v170, v19, v170 row_newbcast:6 row_mask:0xf bank_mask:0xf// 000000004F88: 0B5554FA FF015613
	v_mul_f32_dpp v171, v19, v171 row_newbcast:7 row_mask:0xf bank_mask:0xf// 000000004F90: 0B5756FA FF015713
	v_mul_f32_dpp v172, v19, v172 row_newbcast:4 row_mask:0xf bank_mask:0xf// 000000004F98: 0B5958FA FF015413
	v_mul_f32_dpp v173, v19, v173 row_newbcast:5 row_mask:0xf bank_mask:0xf// 000000004FA0: 0B5B5AFA FF015513
	v_mul_f32_dpp v174, v19, v174 row_newbcast:6 row_mask:0xf bank_mask:0xf// 000000004FA8: 0B5D5CFA FF015613
	v_mul_f32_dpp v175, v19, v175 row_newbcast:7 row_mask:0xf bank_mask:0xf// 000000004FB0: 0B5F5EFA FF015713
	buffer_load_dword v12, v5, s[16:19], 0 offen               // 000000004FB8: E0501000 80040C05
	v_mov_b32_e32 v22, 0x358637bd                              // 000000004FC0: 7E2C02FF 358637BD
	v_mov_b32_e32 v23, 0x358637bd                              // 000000004FC8: 7E2E02FF 358637BD
	v_max3_f32 v22, |v128|, |v129|, v22                        // 000000004FD0: D1D30316 045B0380
	v_max3_f32 v22, |v130|, |v131|, v22                        // 000000004FD8: D1D30316 045B0782
	v_max3_f32 v23, |v132|, |v133|, v23                        // 000000004FE0: D1D30317 045F0B84
	v_max3_f32 v23, |v134|, |v135|, v23                        // 000000004FE8: D1D30317 045F0F86
	v_max3_f32 v22, |v136|, |v137|, v22                        // 000000004FF0: D1D30316 045B1388
	v_max3_f32 v22, |v138|, |v139|, v22                        // 000000004FF8: D1D30316 045B178A
	v_max3_f32 v23, |v140|, |v141|, v23                        // 000000005000: D1D30317 045F1B8C
	v_max3_f32 v23, |v142|, |v143|, v23                        // 000000005008: D1D30317 045F1F8E
	v_max3_f32 v22, |v144|, |v145|, v22                        // 000000005010: D1D30316 045B2390
	v_max3_f32 v22, |v146|, |v147|, v22                        // 000000005018: D1D30316 045B2792
	v_max3_f32 v23, |v148|, |v149|, v23                        // 000000005020: D1D30317 045F2B94
	v_max3_f32 v23, |v150|, |v151|, v23                        // 000000005028: D1D30317 045F2F96
	v_max3_f32 v22, |v152|, |v153|, v22                        // 000000005030: D1D30316 045B3398
	v_max3_f32 v22, |v154|, |v155|, v22                        // 000000005038: D1D30316 045B379A
	v_max3_f32 v23, |v156|, |v157|, v23                        // 000000005040: D1D30317 045F3B9C
	v_max3_f32 v23, |v158|, |v159|, v23                        // 000000005048: D1D30317 045F3F9E
	v_max3_f32 v22, |v160|, |v161|, v22                        // 000000005050: D1D30316 045B43A0
	v_max3_f32 v22, |v162|, |v163|, v22                        // 000000005058: D1D30316 045B47A2
	v_max3_f32 v23, |v164|, |v165|, v23                        // 000000005060: D1D30317 045F4BA4
	v_max3_f32 v23, |v166|, |v167|, v23                        // 000000005068: D1D30317 045F4FA6
	v_max3_f32 v22, |v168|, |v169|, v22                        // 000000005070: D1D30316 045B53A8
	v_max3_f32 v22, |v170|, |v171|, v22                        // 000000005078: D1D30316 045B57AA
	v_max3_f32 v23, |v172|, |v173|, v23                        // 000000005080: D1D30317 045F5BAC
	v_max3_f32 v23, |v174|, |v175|, v23                        // 000000005088: D1D30317 045F5FAE
	v_lshlrev_b32_e32 v48, 3, v0                               // 000000005090: 24600083
	s_mul_i32 s60, 0x200, s7                                   // 000000005094: 923C07FF 00000200
	v_add_u32_e32 v48, s60, v48                                // 00000000509C: 6860603C
	ds_write_b64 v48, v[22:23] offset:16640                    // 0000000050A0: D89A4100 00001630
	s_waitcnt lgkmcnt(0)                                       // 0000000050A8: BF8CC07F
	s_barrier                                                  // 0000000050AC: BF8A0000
	v_and_b32_e32 v48, 15, v0                                  // 0000000050B0: 2660008F
	v_lshlrev_b32_e32 v48, 3, v48                              // 0000000050B4: 24606083
	ds_read_b64 v[96:97], v48 offset:16640                     // 0000000050B8: D8EC4100 60000030
	ds_read_b64 v[98:99], v48 offset:16768                     // 0000000050C0: D8EC4180 62000030
	ds_read_b64 v[100:101], v48 offset:16896                   // 0000000050C8: D8EC4200 64000030
	ds_read_b64 v[102:103], v48 offset:17024                   // 0000000050D0: D8EC4280 66000030
	ds_read_b64 v[104:105], v48 offset:17152                   // 0000000050D8: D8EC4300 68000030
	ds_read_b64 v[106:107], v48 offset:17280                   // 0000000050E0: D8EC4380 6A000030
	ds_read_b64 v[108:109], v48 offset:17408                   // 0000000050E8: D8EC4400 6C000030
	ds_read_b64 v[110:111], v48 offset:17536                   // 0000000050F0: D8EC4480 6E000030
	ds_read_b64 v[112:113], v48 offset:17664                   // 0000000050F8: D8EC4500 70000030
	ds_read_b64 v[114:115], v48 offset:17792                   // 000000005100: D8EC4580 72000030
	ds_read_b64 v[116:117], v48 offset:17920                   // 000000005108: D8EC4600 74000030
	ds_read_b64 v[118:119], v48 offset:18048                   // 000000005110: D8EC4680 76000030
	ds_read_b64 v[120:121], v48 offset:18176                   // 000000005118: D8EC4700 78000030
	ds_read_b64 v[122:123], v48 offset:18304                   // 000000005120: D8EC4780 7A000030
	ds_read_b64 v[124:125], v48 offset:18432                   // 000000005128: D8EC4800 7C000030
	ds_read_b64 v[126:127], v48 offset:18560                   // 000000005130: D8EC4880 7E000030
	s_waitcnt lgkmcnt(0)                                       // 000000005138: BF8CC07F
	v_max3_f32 v22, |v96|, |v98|, v22                          // 00000000513C: D1D30316 045AC560
	v_max3_f32 v23, |v97|, |v99|, v23                          // 000000005144: D1D30317 045EC761
	v_max3_f32 v22, |v100|, |v102|, v22                        // 00000000514C: D1D30316 045ACD64
	v_max3_f32 v23, |v101|, |v103|, v23                        // 000000005154: D1D30317 045ECF65
	v_max3_f32 v22, |v104|, |v106|, v22                        // 00000000515C: D1D30316 045AD568
	v_max3_f32 v23, |v105|, |v107|, v23                        // 000000005164: D1D30317 045ED769
	v_max3_f32 v22, |v108|, |v110|, v22                        // 00000000516C: D1D30316 045ADD6C
	v_max3_f32 v23, |v109|, |v111|, v23                        // 000000005174: D1D30317 045EDF6D
	v_max3_f32 v22, |v112|, |v114|, v22                        // 00000000517C: D1D30316 045AE570
	v_max3_f32 v23, |v113|, |v115|, v23                        // 000000005184: D1D30317 045EE771
	v_max3_f32 v22, |v116|, |v118|, v22                        // 00000000518C: D1D30316 045AED74
	v_max3_f32 v23, |v117|, |v119|, v23                        // 000000005194: D1D30317 045EEF75
	v_max3_f32 v22, |v120|, |v122|, v22                        // 00000000519C: D1D30316 045AF578
	v_max3_f32 v23, |v121|, |v123|, v23                        // 0000000051A4: D1D30317 045EF779
	v_max3_f32 v22, |v124|, |v126|, v22                        // 0000000051AC: D1D30316 045AFD7C
	v_max3_f32 v23, |v125|, |v127|, v23                        // 0000000051B4: D1D30317 045EFF7D
	v_rcp_f32_e32 v22, v22                                     // 0000000051BC: 7E2C4516
	v_rcp_f32_e32 v23, v23                                     // 0000000051C0: 7E2E4517
	v_mul_f32_e32 v22, 0x42fe0000, v22                         // 0000000051C4: 0A2C2CFF 42FE0000
	v_mul_f32_e32 v23, 0x42fe0000, v23                         // 0000000051CC: 0A2E2EFF 42FE0000
	v_mul_f32_e32 v128, v22, v128                              // 0000000051D4: 0B010116
	v_mul_f32_e32 v129, v22, v129                              // 0000000051D8: 0B030316
	v_mul_f32_e32 v130, v22, v130                              // 0000000051DC: 0B050516
	v_mul_f32_e32 v131, v22, v131                              // 0000000051E0: 0B070716
	v_cvt_i32_f32_e32 v128, v128                               // 0000000051E4: 7F001180
	v_cvt_i32_f32_e32 v129, v129                               // 0000000051E8: 7F021181
	v_cvt_i32_f32_e32 v130, v130                               // 0000000051EC: 7F041182
	v_cvt_i32_f32_e32 v131, v131                               // 0000000051F0: 7F061183
	v_perm_b32 v128, v129, v128, s53                           // 0000000051F4: D1ED0080 00D70181
	v_perm_b32 v128, v130, v128, s54                           // 0000000051FC: D1ED0080 00DB0182
	v_perm_b32 v128, v131, v128, s55                           // 000000005204: D1ED0080 00DF0183
	v_mul_f32_e32 v132, v23, v132                              // 00000000520C: 0B090917
	v_mul_f32_e32 v133, v23, v133                              // 000000005210: 0B0B0B17
	v_mul_f32_e32 v134, v23, v134                              // 000000005214: 0B0D0D17
	v_mul_f32_e32 v135, v23, v135                              // 000000005218: 0B0F0F17
	v_cvt_i32_f32_e32 v132, v132                               // 00000000521C: 7F081184
	v_cvt_i32_f32_e32 v133, v133                               // 000000005220: 7F0A1185
	v_cvt_i32_f32_e32 v134, v134                               // 000000005224: 7F0C1186
	v_cvt_i32_f32_e32 v135, v135                               // 000000005228: 7F0E1187
	v_perm_b32 v129, v133, v132, s53                           // 00000000522C: D1ED0081 00D70985
	v_perm_b32 v129, v134, v129, s54                           // 000000005234: D1ED0081 00DB0386
	v_perm_b32 v129, v135, v129, s55                           // 00000000523C: D1ED0081 00DF0387
	v_mul_f32_e32 v136, v22, v136                              // 000000005244: 0B111116
	v_mul_f32_e32 v137, v22, v137                              // 000000005248: 0B131316
	v_mul_f32_e32 v138, v22, v138                              // 00000000524C: 0B151516
	v_mul_f32_e32 v139, v22, v139                              // 000000005250: 0B171716
	v_cvt_i32_f32_e32 v136, v136                               // 000000005254: 7F101188
	v_cvt_i32_f32_e32 v137, v137                               // 000000005258: 7F121189
	v_cvt_i32_f32_e32 v138, v138                               // 00000000525C: 7F14118A
	v_cvt_i32_f32_e32 v139, v139                               // 000000005260: 7F16118B
	v_perm_b32 v130, v137, v136, s53                           // 000000005264: D1ED0082 00D71189
	v_perm_b32 v130, v138, v130, s54                           // 00000000526C: D1ED0082 00DB058A
	v_perm_b32 v130, v139, v130, s55                           // 000000005274: D1ED0082 00DF058B
	v_mul_f32_e32 v140, v23, v140                              // 00000000527C: 0B191917
	v_mul_f32_e32 v141, v23, v141                              // 000000005280: 0B1B1B17
	v_mul_f32_e32 v142, v23, v142                              // 000000005284: 0B1D1D17
	v_mul_f32_e32 v143, v23, v143                              // 000000005288: 0B1F1F17
	v_cvt_i32_f32_e32 v140, v140                               // 00000000528C: 7F18118C
	v_cvt_i32_f32_e32 v141, v141                               // 000000005290: 7F1A118D
	v_cvt_i32_f32_e32 v142, v142                               // 000000005294: 7F1C118E
	v_cvt_i32_f32_e32 v143, v143                               // 000000005298: 7F1E118F
	v_perm_b32 v131, v141, v140, s53                           // 00000000529C: D1ED0083 00D7198D
	v_perm_b32 v131, v142, v131, s54                           // 0000000052A4: D1ED0083 00DB078E
	v_perm_b32 v131, v143, v131, s55                           // 0000000052AC: D1ED0083 00DF078F
	v_mul_f32_e32 v144, v22, v144                              // 0000000052B4: 0B212116
	v_mul_f32_e32 v145, v22, v145                              // 0000000052B8: 0B232316
	v_mul_f32_e32 v146, v22, v146                              // 0000000052BC: 0B252516
	v_mul_f32_e32 v147, v22, v147                              // 0000000052C0: 0B272716
	v_cvt_i32_f32_e32 v144, v144                               // 0000000052C4: 7F201190
	v_cvt_i32_f32_e32 v145, v145                               // 0000000052C8: 7F221191
	v_cvt_i32_f32_e32 v146, v146                               // 0000000052CC: 7F241192
	v_cvt_i32_f32_e32 v147, v147                               // 0000000052D0: 7F261193
	v_perm_b32 v132, v145, v144, s53                           // 0000000052D4: D1ED0084 00D72191
	v_perm_b32 v132, v146, v132, s54                           // 0000000052DC: D1ED0084 00DB0992
	v_perm_b32 v132, v147, v132, s55                           // 0000000052E4: D1ED0084 00DF0993
	v_mul_f32_e32 v148, v23, v148                              // 0000000052EC: 0B292917
	v_mul_f32_e32 v149, v23, v149                              // 0000000052F0: 0B2B2B17
	v_mul_f32_e32 v150, v23, v150                              // 0000000052F4: 0B2D2D17
	v_mul_f32_e32 v151, v23, v151                              // 0000000052F8: 0B2F2F17
	v_cvt_i32_f32_e32 v148, v148                               // 0000000052FC: 7F281194
	v_cvt_i32_f32_e32 v149, v149                               // 000000005300: 7F2A1195
	v_cvt_i32_f32_e32 v150, v150                               // 000000005304: 7F2C1196
	v_cvt_i32_f32_e32 v151, v151                               // 000000005308: 7F2E1197
	v_perm_b32 v133, v149, v148, s53                           // 00000000530C: D1ED0085 00D72995
	v_perm_b32 v133, v150, v133, s54                           // 000000005314: D1ED0085 00DB0B96
	v_perm_b32 v133, v151, v133, s55                           // 00000000531C: D1ED0085 00DF0B97
	v_mul_f32_e32 v152, v22, v152                              // 000000005324: 0B313116
	v_mul_f32_e32 v153, v22, v153                              // 000000005328: 0B333316
	v_mul_f32_e32 v154, v22, v154                              // 00000000532C: 0B353516
	v_mul_f32_e32 v155, v22, v155                              // 000000005330: 0B373716
	v_cvt_i32_f32_e32 v152, v152                               // 000000005334: 7F301198
	v_cvt_i32_f32_e32 v153, v153                               // 000000005338: 7F321199
	v_cvt_i32_f32_e32 v154, v154                               // 00000000533C: 7F34119A
	v_cvt_i32_f32_e32 v155, v155                               // 000000005340: 7F36119B
	v_perm_b32 v134, v153, v152, s53                           // 000000005344: D1ED0086 00D73199
	v_perm_b32 v134, v154, v134, s54                           // 00000000534C: D1ED0086 00DB0D9A
	v_perm_b32 v134, v155, v134, s55                           // 000000005354: D1ED0086 00DF0D9B
	v_mul_f32_e32 v156, v23, v156                              // 00000000535C: 0B393917
	v_mul_f32_e32 v157, v23, v157                              // 000000005360: 0B3B3B17
	v_mul_f32_e32 v158, v23, v158                              // 000000005364: 0B3D3D17
	v_mul_f32_e32 v159, v23, v159                              // 000000005368: 0B3F3F17
	v_cvt_i32_f32_e32 v156, v156                               // 00000000536C: 7F38119C
	v_cvt_i32_f32_e32 v157, v157                               // 000000005370: 7F3A119D
	v_cvt_i32_f32_e32 v158, v158                               // 000000005374: 7F3C119E
	v_cvt_i32_f32_e32 v159, v159                               // 000000005378: 7F3E119F
	v_perm_b32 v135, v157, v156, s53                           // 00000000537C: D1ED0087 00D7399D
	v_perm_b32 v135, v158, v135, s54                           // 000000005384: D1ED0087 00DB0F9E
	v_perm_b32 v135, v159, v135, s55                           // 00000000538C: D1ED0087 00DF0F9F
	v_mul_f32_e32 v160, v22, v160                              // 000000005394: 0B414116
	v_mul_f32_e32 v161, v22, v161                              // 000000005398: 0B434316
	v_mul_f32_e32 v162, v22, v162                              // 00000000539C: 0B454516
	v_mul_f32_e32 v163, v22, v163                              // 0000000053A0: 0B474716
	v_cvt_i32_f32_e32 v160, v160                               // 0000000053A4: 7F4011A0
	v_cvt_i32_f32_e32 v161, v161                               // 0000000053A8: 7F4211A1
	v_cvt_i32_f32_e32 v162, v162                               // 0000000053AC: 7F4411A2
	v_cvt_i32_f32_e32 v163, v163                               // 0000000053B0: 7F4611A3
	v_perm_b32 v136, v161, v160, s53                           // 0000000053B4: D1ED0088 00D741A1
	v_perm_b32 v136, v162, v136, s54                           // 0000000053BC: D1ED0088 00DB11A2
	v_perm_b32 v136, v163, v136, s55                           // 0000000053C4: D1ED0088 00DF11A3
	v_mul_f32_e32 v164, v23, v164                              // 0000000053CC: 0B494917
	v_mul_f32_e32 v165, v23, v165                              // 0000000053D0: 0B4B4B17
	v_mul_f32_e32 v166, v23, v166                              // 0000000053D4: 0B4D4D17
	v_mul_f32_e32 v167, v23, v167                              // 0000000053D8: 0B4F4F17
	v_cvt_i32_f32_e32 v164, v164                               // 0000000053DC: 7F4811A4
	v_cvt_i32_f32_e32 v165, v165                               // 0000000053E0: 7F4A11A5
	v_cvt_i32_f32_e32 v166, v166                               // 0000000053E4: 7F4C11A6
	v_cvt_i32_f32_e32 v167, v167                               // 0000000053E8: 7F4E11A7
	v_perm_b32 v137, v165, v164, s53                           // 0000000053EC: D1ED0089 00D749A5
	v_perm_b32 v137, v166, v137, s54                           // 0000000053F4: D1ED0089 00DB13A6
	v_perm_b32 v137, v167, v137, s55                           // 0000000053FC: D1ED0089 00DF13A7
	v_mul_f32_e32 v168, v22, v168                              // 000000005404: 0B515116
	v_mul_f32_e32 v169, v22, v169                              // 000000005408: 0B535316
	v_mul_f32_e32 v170, v22, v170                              // 00000000540C: 0B555516
	v_mul_f32_e32 v171, v22, v171                              // 000000005410: 0B575716
	v_cvt_i32_f32_e32 v168, v168                               // 000000005414: 7F5011A8
	v_cvt_i32_f32_e32 v169, v169                               // 000000005418: 7F5211A9
	v_cvt_i32_f32_e32 v170, v170                               // 00000000541C: 7F5411AA
	v_cvt_i32_f32_e32 v171, v171                               // 000000005420: 7F5611AB
	v_perm_b32 v138, v169, v168, s53                           // 000000005424: D1ED008A 00D751A9
	v_perm_b32 v138, v170, v138, s54                           // 00000000542C: D1ED008A 00DB15AA
	v_perm_b32 v138, v171, v138, s55                           // 000000005434: D1ED008A 00DF15AB
	v_mul_f32_e32 v172, v23, v172                              // 00000000543C: 0B595917
	v_mul_f32_e32 v173, v23, v173                              // 000000005440: 0B5B5B17
	v_mul_f32_e32 v174, v23, v174                              // 000000005444: 0B5D5D17
	v_mul_f32_e32 v175, v23, v175                              // 000000005448: 0B5F5F17
	v_cvt_i32_f32_e32 v172, v172                               // 00000000544C: 7F5811AC
	v_cvt_i32_f32_e32 v173, v173                               // 000000005450: 7F5A11AD
	v_cvt_i32_f32_e32 v174, v174                               // 000000005454: 7F5C11AE
	v_cvt_i32_f32_e32 v175, v175                               // 000000005458: 7F5E11AF
	v_perm_b32 v139, v173, v172, s53                           // 00000000545C: D1ED008B 00D759AD
	v_perm_b32 v139, v174, v139, s54                           // 000000005464: D1ED008B 00DB17AE
	v_perm_b32 v139, v175, v139, s55                           // 00000000546C: D1ED008B 00DF17AF
	v_rcp_f32_e32 v24, v22                                     // 000000005474: 7E304516
	v_rcp_f32_e32 v25, v23                                     // 000000005478: 7E324517
	v_lshrrev_b32_e32 v48, 5, v0                               // 00000000547C: 20600085
	v_lshlrev_b32_e32 v49, 5, v48                              // 000000005480: 24626085
	v_and_b32_e32 v48, 31, v0                                  // 000000005484: 2660009F
	v_lshrrev_b32_e32 v50, 4, v48                              // 000000005488: 20646084
	v_add_u32_e32 v49, v50, v49                                // 00000000548C: 68626332
	v_and_b32_e32 v48, 15, v0                                  // 000000005490: 2660008F
	v_lshlrev_b32_e32 v48, 1, v48                              // 000000005494: 24606081
	v_add_u32_e32 v49, v48, v49                                // 000000005498: 68626330
	v_lshlrev_b32_e32 v48, 2, v49                              // 00000000549C: 24606282
	s_mul_i32 s60, 0x100, s7                                   // 0000000054A0: 923C07FF 00000100
	v_add_u32_e64 v48, v48, s60                                // 0000000054A8: D1340030 00007930
	ds_write_b32 v48, v128 offset:18688                        // 0000000054B0: D81A4900 00008030
	ds_write_b32 v48, v129 offset:24832                        // 0000000054B8: D81A6100 00008130
	ds_write_b32 v48, v130 offset:19712                        // 0000000054C0: D81A4D00 00008230
	ds_write_b32 v48, v131 offset:25856                        // 0000000054C8: D81A6500 00008330
	ds_write_b32 v48, v132 offset:20736                        // 0000000054D0: D81A5100 00008430
	ds_write_b32 v48, v133 offset:26880                        // 0000000054D8: D81A6900 00008530
	ds_write_b32 v48, v134 offset:21760                        // 0000000054E0: D81A5500 00008630
	ds_write_b32 v48, v135 offset:27904                        // 0000000054E8: D81A6D00 00008730
	ds_write_b32 v48, v136 offset:22784                        // 0000000054F0: D81A5900 00008830
	ds_write_b32 v48, v137 offset:28928                        // 0000000054F8: D81A7100 00008930
	ds_write_b32 v48, v138 offset:23808                        // 000000005500: D81A5D00 00008A30
	ds_write_b32 v48, v139 offset:29952                        // 000000005508: D81A7500 00008B30
	s_waitcnt lgkmcnt(0)                                       // 000000005510: BF8CC07F
	s_barrier                                                  // 000000005514: BF8A0000
	v_lshrrev_b32_e32 v48, 4, v0                               // 000000005518: 20600084
	v_lshlrev_b32_e32 v49, 6, v48                              // 00000000551C: 24626086
	v_and_b32_e32 v48, 15, v0                                  // 000000005520: 2660008F
	v_lshlrev_b32_e32 v48, 1, v48                              // 000000005524: 24606081
	v_add_u32_e32 v49, v48, v49                                // 000000005528: 68626330
	v_lshlrev_b32_e32 v48, 2, v49                              // 00000000552C: 24606282
	ds_read_b64 v[128:129], v48 offset:18688                   // 000000005530: D8EC4900 80000030
	ds_read_b64 v[130:131], v48 offset:18816                   // 000000005538: D8EC4980 82000030
	ds_read_b64 v[132:133], v48 offset:19712                   // 000000005540: D8EC4D00 84000030
	ds_read_b64 v[134:135], v48 offset:19840                   // 000000005548: D8EC4D80 86000030
	ds_read_b64 v[136:137], v48 offset:20736                   // 000000005550: D8EC5100 88000030
	ds_read_b64 v[138:139], v48 offset:20864                   // 000000005558: D8EC5180 8A000030
	ds_read_b64 v[140:141], v48 offset:21760                   // 000000005560: D8EC5500 8C000030
	ds_read_b64 v[142:143], v48 offset:21888                   // 000000005568: D8EC5580 8E000030
	ds_read_b64 v[144:145], v48 offset:22784                   // 000000005570: D8EC5900 90000030
	ds_read_b64 v[146:147], v48 offset:22912                   // 000000005578: D8EC5980 92000030
	ds_read_b64 v[148:149], v48 offset:23808                   // 000000005580: D8EC5D00 94000030
	ds_read_b64 v[150:151], v48 offset:23936                   // 000000005588: D8EC5D80 96000030
	ds_read_b64 v[152:153], v48 offset:24832                   // 000000005590: D8EC6100 98000030
	ds_read_b64 v[154:155], v48 offset:24960                   // 000000005598: D8EC6180 9A000030
	ds_read_b64 v[156:157], v48 offset:25856                   // 0000000055A0: D8EC6500 9C000030
	ds_read_b64 v[158:159], v48 offset:25984                   // 0000000055A8: D8EC6580 9E000030
	ds_read_b64 v[160:161], v48 offset:26880                   // 0000000055B0: D8EC6900 A0000030
	ds_read_b64 v[162:163], v48 offset:27008                   // 0000000055B8: D8EC6980 A2000030
	ds_read_b64 v[164:165], v48 offset:27904                   // 0000000055C0: D8EC6D00 A4000030
	ds_read_b64 v[166:167], v48 offset:28032                   // 0000000055C8: D8EC6D80 A6000030
	ds_read_b64 v[168:169], v48 offset:28928                   // 0000000055D0: D8EC7100 A8000030
	ds_read_b64 v[170:171], v48 offset:29056                   // 0000000055D8: D8EC7180 AA000030
	ds_read_b64 v[172:173], v48 offset:29952                   // 0000000055E0: D8EC7500 AC000030
	ds_read_b64 v[174:175], v48 offset:30080                   // 0000000055E8: D8EC7580 AE000030
	s_add_u32 s12, s56, s12                                    // 0000000055F0: 800C0C38
	s_addc_u32 s13, 0, s13                                     // 0000000055F4: 820D0D80
	s_add_u32 s16, s79, s16                                    // 0000000055F8: 8010104F
	s_addc_u32 s17, 0, s17                                     // 0000000055FC: 82111180
	s_mov_b32 s80, 0                                           // 000000005600: BED00080
	s_waitcnt vmcnt(0) expcnt(0) lgkmcnt(0)                    // 000000005604: BF8C0000

0000000000005608 <label_0A02>:
	s_waitcnt vmcnt(37)                                        // 000000005608: BF8C8F75
	s_barrier                                                  // 00000000560C: BF8A0000
	v_mfma_i32_16x16x32_i8 v[176:179], a[0:1], v[128:129], 0   // 000000005610: D3D700B0 0A030100
	v_mfma_i32_16x16x32_i8 v[176:179], a[2:3], v[130:131], v[176:179]// 000000005618: D3D700B0 0EC30502
	buffer_load_dwordx4 a[96:99], v40, s[12:15], 0 offen       // 000000005620: E05C1000 80836028
	v_mfma_i32_16x16x32_i8 v[180:183], a[0:1], v[152:153], 0   // 000000005628: D3D700B4 0A033100
	v_mfma_i32_16x16x32_i8 v[180:183], a[2:3], v[154:155], v[180:183]// 000000005630: D3D700B4 0ED33502
	v_mfma_i32_16x16x32_i8 v[184:187], a[4:5], v[128:129], 0   // 000000005638: D3D700B8 0A030104
	v_mfma_i32_16x16x32_i8 v[184:187], a[6:7], v[130:131], v[184:187]// 000000005640: D3D700B8 0EE30506
	buffer_load_dwordx4 a[100:103], v41, s[12:15], 0 offen     // 000000005648: E05C1000 80836429
	v_mfma_i32_16x16x32_i8 v[188:191], a[4:5], v[152:153], 0   // 000000005650: D3D700BC 0A033104
	v_mfma_i32_16x16x32_i8 v[188:191], a[6:7], v[154:155], v[188:191]// 000000005658: D3D700BC 0EF33506
	v_mfma_i32_16x16x32_i8 v[192:195], a[8:9], v[128:129], 0   // 000000005660: D3D700C0 0A030108
	v_mfma_i32_16x16x32_i8 v[192:195], a[10:11], v[130:131], v[192:195]// 000000005668: D3D700C0 0F03050A
	buffer_load_dwordx4 a[104:107], v42, s[12:15], 0 offen     // 000000005670: E05C1000 8083682A
	v_mfma_i32_16x16x32_i8 v[196:199], a[8:9], v[152:153], 0   // 000000005678: D3D700C4 0A033108
	v_mfma_i32_16x16x32_i8 v[196:199], a[10:11], v[154:155], v[196:199]// 000000005680: D3D700C4 0F13350A
	v_mfma_i32_16x16x32_i8 v[200:203], a[12:13], v[128:129], 0 // 000000005688: D3D700C8 0A03010C
	v_mfma_i32_16x16x32_i8 v[200:203], a[14:15], v[130:131], v[200:203]// 000000005690: D3D700C8 0F23050E
	buffer_load_dwordx4 a[108:111], v43, s[12:15], 0 offen     // 000000005698: E05C1000 80836C2B
	s_add_u32 s12, s78, s12                                    // 0000000056A0: 800C0C4E
	s_addc_u32 s13, 0, s13                                     // 0000000056A4: 820D0D80
	v_mfma_i32_16x16x32_i8 v[204:207], a[12:13], v[152:153], 0 // 0000000056A8: D3D700CC 0A03310C
	v_mfma_i32_16x16x32_i8 v[204:207], a[14:15], v[154:155], v[204:207]// 0000000056B0: D3D700CC 0F33350E
	s_waitcnt vmcnt(37)                                        // 0000000056B8: BF8C8F75
	v_mfma_i32_16x16x32_i8 v[176:179], a[16:17], v[132:133], v[176:179]// 0000000056BC: D3D700B0 0EC30910
	v_mfma_i32_16x16x32_i8 v[176:179], a[18:19], v[134:135], v[176:179]// 0000000056C4: D3D700B0 0EC30D12
	buffer_load_dwordx4 a[112:115], v40, s[12:15], 0 offen     // 0000000056CC: E05C1000 80837028
	v_mfma_i32_16x16x32_i8 v[180:183], a[16:17], v[156:157], v[180:183]// 0000000056D4: D3D700B4 0ED33910
	v_mfma_i32_16x16x32_i8 v[180:183], a[18:19], v[158:159], v[180:183]// 0000000056DC: D3D700B4 0ED33D12
	v_mfma_i32_16x16x32_i8 v[184:187], a[20:21], v[132:133], v[184:187]// 0000000056E4: D3D700B8 0EE30914
	v_mfma_i32_16x16x32_i8 v[184:187], a[22:23], v[134:135], v[184:187]// 0000000056EC: D3D700B8 0EE30D16
	buffer_load_dwordx4 a[116:119], v41, s[12:15], 0 offen     // 0000000056F4: E05C1000 80837429
	v_mfma_i32_16x16x32_i8 v[188:191], a[20:21], v[156:157], v[188:191]// 0000000056FC: D3D700BC 0EF33914
	v_mfma_i32_16x16x32_i8 v[188:191], a[22:23], v[158:159], v[188:191]// 000000005704: D3D700BC 0EF33D16
	v_mfma_i32_16x16x32_i8 v[192:195], a[24:25], v[132:133], v[192:195]// 00000000570C: D3D700C0 0F030918
	v_mfma_i32_16x16x32_i8 v[192:195], a[26:27], v[134:135], v[192:195]// 000000005714: D3D700C0 0F030D1A
	buffer_load_dwordx4 a[120:123], v42, s[12:15], 0 offen     // 00000000571C: E05C1000 8083782A
	v_mfma_i32_16x16x32_i8 v[196:199], a[24:25], v[156:157], v[196:199]// 000000005724: D3D700C4 0F133918
	v_mfma_i32_16x16x32_i8 v[196:199], a[26:27], v[158:159], v[196:199]// 00000000572C: D3D700C4 0F133D1A
	v_mfma_i32_16x16x32_i8 v[200:203], a[28:29], v[132:133], v[200:203]// 000000005734: D3D700C8 0F23091C
	v_mfma_i32_16x16x32_i8 v[200:203], a[30:31], v[134:135], v[200:203]// 00000000573C: D3D700C8 0F230D1E
	buffer_load_dwordx4 a[124:127], v43, s[12:15], 0 offen     // 000000005744: E05C1000 80837C2B
	s_add_u32 s12, s78, s12                                    // 00000000574C: 800C0C4E
	s_addc_u32 s13, 0, s13                                     // 000000005750: 820D0D80
	v_mfma_i32_16x16x32_i8 v[204:207], a[28:29], v[156:157], v[204:207]// 000000005754: D3D700CC 0F33391C
	v_mfma_i32_16x16x32_i8 v[204:207], a[30:31], v[158:159], v[204:207]// 00000000575C: D3D700CC 0F333D1E
	s_waitcnt vmcnt(37)                                        // 000000005764: BF8C8F75
	v_mfma_i32_16x16x32_i8 v[176:179], a[32:33], v[136:137], v[176:179]// 000000005768: D3D700B0 0EC31120
	v_mfma_i32_16x16x32_i8 v[176:179], a[34:35], v[138:139], v[176:179]// 000000005770: D3D700B0 0EC31522
	buffer_load_dwordx4 a[128:131], v40, s[12:15], 0 offen     // 000000005778: E05C1000 80838028
	v_mfma_i32_16x16x32_i8 v[180:183], a[32:33], v[160:161], v[180:183]// 000000005780: D3D700B4 0ED34120
	v_mfma_i32_16x16x32_i8 v[180:183], a[34:35], v[162:163], v[180:183]// 000000005788: D3D700B4 0ED34522
	v_mfma_i32_16x16x32_i8 v[184:187], a[36:37], v[136:137], v[184:187]// 000000005790: D3D700B8 0EE31124
	v_mfma_i32_16x16x32_i8 v[184:187], a[38:39], v[138:139], v[184:187]// 000000005798: D3D700B8 0EE31526
	buffer_load_dwordx4 a[132:135], v41, s[12:15], 0 offen     // 0000000057A0: E05C1000 80838429
	v_mfma_i32_16x16x32_i8 v[188:191], a[36:37], v[160:161], v[188:191]// 0000000057A8: D3D700BC 0EF34124
	v_mfma_i32_16x16x32_i8 v[188:191], a[38:39], v[162:163], v[188:191]// 0000000057B0: D3D700BC 0EF34526
	v_mfma_i32_16x16x32_i8 v[192:195], a[40:41], v[136:137], v[192:195]// 0000000057B8: D3D700C0 0F031128
	v_mfma_i32_16x16x32_i8 v[192:195], a[42:43], v[138:139], v[192:195]// 0000000057C0: D3D700C0 0F03152A
	buffer_load_dwordx4 a[136:139], v42, s[12:15], 0 offen     // 0000000057C8: E05C1000 8083882A
	v_mfma_i32_16x16x32_i8 v[196:199], a[40:41], v[160:161], v[196:199]// 0000000057D0: D3D700C4 0F134128
	v_mfma_i32_16x16x32_i8 v[196:199], a[42:43], v[162:163], v[196:199]// 0000000057D8: D3D700C4 0F13452A
	v_mfma_i32_16x16x32_i8 v[200:203], a[44:45], v[136:137], v[200:203]// 0000000057E0: D3D700C8 0F23112C
	v_mfma_i32_16x16x32_i8 v[200:203], a[46:47], v[138:139], v[200:203]// 0000000057E8: D3D700C8 0F23152E
	buffer_load_dwordx4 a[140:143], v43, s[12:15], 0 offen     // 0000000057F0: E05C1000 80838C2B
	s_add_u32 s12, s78, s12                                    // 0000000057F8: 800C0C4E
	s_addc_u32 s13, 0, s13                                     // 0000000057FC: 820D0D80
	v_mfma_i32_16x16x32_i8 v[204:207], a[44:45], v[160:161], v[204:207]// 000000005800: D3D700CC 0F33412C
	v_mfma_i32_16x16x32_i8 v[204:207], a[46:47], v[162:163], v[204:207]// 000000005808: D3D700CC 0F33452E
	s_waitcnt vmcnt(37)                                        // 000000005810: BF8C8F75
	v_mfma_i32_16x16x32_i8 v[176:179], a[48:49], v[140:141], v[176:179]// 000000005814: D3D700B0 0EC31930
	v_mfma_i32_16x16x32_i8 v[176:179], a[50:51], v[142:143], v[176:179]// 00000000581C: D3D700B0 0EC31D32
	buffer_load_dwordx4 a[144:147], v40, s[12:15], 0 offen     // 000000005824: E05C1000 80839028
	v_mfma_i32_16x16x32_i8 v[180:183], a[48:49], v[164:165], v[180:183]// 00000000582C: D3D700B4 0ED34930
	v_mfma_i32_16x16x32_i8 v[180:183], a[50:51], v[166:167], v[180:183]// 000000005834: D3D700B4 0ED34D32
	v_mfma_i32_16x16x32_i8 v[184:187], a[52:53], v[140:141], v[184:187]// 00000000583C: D3D700B8 0EE31934
	v_mfma_i32_16x16x32_i8 v[184:187], a[54:55], v[142:143], v[184:187]// 000000005844: D3D700B8 0EE31D36
	buffer_load_dwordx4 a[148:151], v41, s[12:15], 0 offen     // 00000000584C: E05C1000 80839429
	v_mfma_i32_16x16x32_i8 v[188:191], a[52:53], v[164:165], v[188:191]// 000000005854: D3D700BC 0EF34934
	v_mfma_i32_16x16x32_i8 v[188:191], a[54:55], v[166:167], v[188:191]// 00000000585C: D3D700BC 0EF34D36
	v_mfma_i32_16x16x32_i8 v[192:195], a[56:57], v[140:141], v[192:195]// 000000005864: D3D700C0 0F031938
	v_mfma_i32_16x16x32_i8 v[192:195], a[58:59], v[142:143], v[192:195]// 00000000586C: D3D700C0 0F031D3A
	buffer_load_dwordx4 a[152:155], v42, s[12:15], 0 offen     // 000000005874: E05C1000 8083982A
	v_mfma_i32_16x16x32_i8 v[196:199], a[56:57], v[164:165], v[196:199]// 00000000587C: D3D700C4 0F134938
	v_mfma_i32_16x16x32_i8 v[196:199], a[58:59], v[166:167], v[196:199]// 000000005884: D3D700C4 0F134D3A
	v_mfma_i32_16x16x32_i8 v[200:203], a[60:61], v[140:141], v[200:203]// 00000000588C: D3D700C8 0F23193C
	v_mfma_i32_16x16x32_i8 v[200:203], a[62:63], v[142:143], v[200:203]// 000000005894: D3D700C8 0F231D3E
	buffer_load_dwordx4 a[156:159], v43, s[12:15], 0 offen     // 00000000589C: E05C1000 80839C2B
	s_add_u32 s12, s78, s12                                    // 0000000058A4: 800C0C4E
	s_addc_u32 s13, 0, s13                                     // 0000000058A8: 820D0D80
	v_mfma_i32_16x16x32_i8 v[204:207], a[60:61], v[164:165], v[204:207]// 0000000058AC: D3D700CC 0F33493C
	v_mfma_i32_16x16x32_i8 v[204:207], a[62:63], v[166:167], v[204:207]// 0000000058B4: D3D700CC 0F334D3E
	s_waitcnt vmcnt(37)                                        // 0000000058BC: BF8C8F75
	v_mfma_i32_16x16x32_i8 v[176:179], a[64:65], v[144:145], v[176:179]// 0000000058C0: D3D700B0 0EC32140
	v_mfma_i32_16x16x32_i8 v[176:179], a[66:67], v[146:147], v[176:179]// 0000000058C8: D3D700B0 0EC32542
	buffer_load_dwordx4 a[160:163], v40, s[12:15], 0 offen     // 0000000058D0: E05C1000 8083A028
	v_mfma_i32_16x16x32_i8 v[180:183], a[64:65], v[168:169], v[180:183]// 0000000058D8: D3D700B4 0ED35140
	v_mfma_i32_16x16x32_i8 v[180:183], a[66:67], v[170:171], v[180:183]// 0000000058E0: D3D700B4 0ED35542
	v_mfma_i32_16x16x32_i8 v[184:187], a[68:69], v[144:145], v[184:187]// 0000000058E8: D3D700B8 0EE32144
	v_mfma_i32_16x16x32_i8 v[184:187], a[70:71], v[146:147], v[184:187]// 0000000058F0: D3D700B8 0EE32546
	buffer_load_dwordx4 a[164:167], v41, s[12:15], 0 offen     // 0000000058F8: E05C1000 8083A429
	v_mfma_i32_16x16x32_i8 v[188:191], a[68:69], v[168:169], v[188:191]// 000000005900: D3D700BC 0EF35144
	v_mfma_i32_16x16x32_i8 v[188:191], a[70:71], v[170:171], v[188:191]// 000000005908: D3D700BC 0EF35546
	v_mfma_i32_16x16x32_i8 v[192:195], a[72:73], v[144:145], v[192:195]// 000000005910: D3D700C0 0F032148
	v_mfma_i32_16x16x32_i8 v[192:195], a[74:75], v[146:147], v[192:195]// 000000005918: D3D700C0 0F03254A
	buffer_load_dwordx4 a[168:171], v42, s[12:15], 0 offen     // 000000005920: E05C1000 8083A82A
	v_mfma_i32_16x16x32_i8 v[196:199], a[72:73], v[168:169], v[196:199]// 000000005928: D3D700C4 0F135148
	v_mfma_i32_16x16x32_i8 v[196:199], a[74:75], v[170:171], v[196:199]// 000000005930: D3D700C4 0F13554A
	v_mfma_i32_16x16x32_i8 v[200:203], a[76:77], v[144:145], v[200:203]// 000000005938: D3D700C8 0F23214C
	v_mfma_i32_16x16x32_i8 v[200:203], a[78:79], v[146:147], v[200:203]// 000000005940: D3D700C8 0F23254E
	buffer_load_dwordx4 a[172:175], v43, s[12:15], 0 offen     // 000000005948: E05C1000 8083AC2B
	s_add_u32 s12, s78, s12                                    // 000000005950: 800C0C4E
	s_addc_u32 s13, 0, s13                                     // 000000005954: 820D0D80
	v_mfma_i32_16x16x32_i8 v[204:207], a[76:77], v[168:169], v[204:207]// 000000005958: D3D700CC 0F33514C
	v_mfma_i32_16x16x32_i8 v[204:207], a[78:79], v[170:171], v[204:207]// 000000005960: D3D700CC 0F33554E
	s_waitcnt vmcnt(36)                                        // 000000005968: BF8C8F74
	v_mfma_i32_16x16x32_i8 v[176:179], a[80:81], v[148:149], v[176:179]// 00000000596C: D3D700B0 0EC32950
	v_mfma_i32_16x16x32_i8 v[176:179], a[82:83], v[150:151], v[176:179]// 000000005974: D3D700B0 0EC32D52
	buffer_load_dwordx4 a[176:179], v40, s[12:15], 0 offen     // 00000000597C: E05C1000 8083B028
	v_mfma_i32_16x16x32_i8 v[180:183], a[80:81], v[172:173], v[180:183]// 000000005984: D3D700B4 0ED35950
	v_mfma_i32_16x16x32_i8 v[180:183], a[82:83], v[174:175], v[180:183]// 00000000598C: D3D700B4 0ED35D52
	buffer_load_dword v13, v5, s[16:19], 0 offen               // 000000005994: E0501000 80040D05
	v_mfma_i32_16x16x32_i8 v[184:187], a[84:85], v[148:149], v[184:187]// 00000000599C: D3D700B8 0EE32954
	v_mfma_i32_16x16x32_i8 v[184:187], a[86:87], v[150:151], v[184:187]// 0000000059A4: D3D700B8 0EE32D56
	buffer_load_dwordx4 a[180:183], v41, s[12:15], 0 offen     // 0000000059AC: E05C1000 8083B429
	v_mfma_i32_16x16x32_i8 v[188:191], a[84:85], v[172:173], v[188:191]// 0000000059B4: D3D700BC 0EF35954
	v_mfma_i32_16x16x32_i8 v[188:191], a[86:87], v[174:175], v[188:191]// 0000000059BC: D3D700BC 0EF35D56
	v_mfma_i32_16x16x32_i8 v[192:195], a[88:89], v[148:149], v[192:195]// 0000000059C4: D3D700C0 0F032958
	v_mfma_i32_16x16x32_i8 v[192:195], a[90:91], v[150:151], v[192:195]// 0000000059CC: D3D700C0 0F032D5A
	buffer_load_dwordx4 a[184:187], v42, s[12:15], 0 offen     // 0000000059D4: E05C1000 8083B82A
	v_mfma_i32_16x16x32_i8 v[196:199], a[88:89], v[172:173], v[196:199]// 0000000059DC: D3D700C4 0F135958
	v_mfma_i32_16x16x32_i8 v[196:199], a[90:91], v[174:175], v[196:199]// 0000000059E4: D3D700C4 0F135D5A
	v_mfma_i32_16x16x32_i8 v[200:203], a[92:93], v[148:149], v[200:203]// 0000000059EC: D3D700C8 0F23295C
	v_mfma_i32_16x16x32_i8 v[200:203], a[94:95], v[150:151], v[200:203]// 0000000059F4: D3D700C8 0F232D5E
	buffer_load_dwordx4 a[188:191], v43, s[12:15], 0 offen     // 0000000059FC: E05C1000 8083BC2B
	v_mfma_i32_16x16x32_i8 v[204:207], a[92:93], v[172:173], v[204:207]// 000000005A04: D3D700CC 0F33595C
	v_mfma_i32_16x16x32_i8 v[204:207], a[94:95], v[174:175], v[204:207]// 000000005A0C: D3D700CC 0F335D5E
	s_add_u32 s60, 0x200, s80                                  // 000000005A14: 803C50FF 00000200
	s_cmp_lt_u32 s60, s81                                      // 000000005A1C: BF0A513C
	s_cselect_b32 s56, s56, 0                                  // 000000005A20: 85388038
	s_cselect_b32 s78, s78, 0                                  // 000000005A24: 854E804E
	s_cselect_b32 s79, s79, 0                                  // 000000005A28: 854F804F
	s_add_u32 s12, s56, s12                                    // 000000005A2C: 800C0C38
	s_addc_u32 s13, 0, s13                                     // 000000005A30: 820D0D80
	s_add_u32 s16, s79, s16                                    // 000000005A34: 8010104F
	s_addc_u32 s17, 0, s17                                     // 000000005A38: 82111180
	v_cvt_f32_i32_e32 v176, v176                               // 000000005A3C: 7F600BB0
	v_cvt_f32_i32_e32 v177, v177                               // 000000005A40: 7F620BB1
	v_cvt_f32_i32_e32 v178, v178                               // 000000005A44: 7F640BB2
	v_cvt_f32_i32_e32 v179, v179                               // 000000005A48: 7F660BB3
	v_mul_f32_e32 v176, v24, v176                              // 000000005A4C: 0B616118
	v_mul_f32_e32 v177, v24, v177                              // 000000005A50: 0B636318
	v_mul_f32_e32 v178, v24, v178                              // 000000005A54: 0B656518
	v_mul_f32_e32 v179, v24, v179                              // 000000005A58: 0B676718
	v_mul_f32_dpp v176, v12, v176 row_newbcast:0 row_mask:0xf bank_mask:0xf// 000000005A5C: 0B6160FA FF01500C
	v_mul_f32_dpp v177, v12, v177 row_newbcast:1 row_mask:0xf bank_mask:0xf// 000000005A64: 0B6362FA FF01510C
	v_mul_f32_dpp v178, v12, v178 row_newbcast:2 row_mask:0xf bank_mask:0xf// 000000005A6C: 0B6564FA FF01520C
	v_mul_f32_dpp v179, v12, v179 row_newbcast:3 row_mask:0xf bank_mask:0xf// 000000005A74: 0B6766FA FF01530C
	v_mul_f32_e32 v176, v20, v176                              // 000000005A7C: 0B616114
	v_mul_f32_e32 v177, v20, v177                              // 000000005A80: 0B636314
	v_mul_f32_e32 v178, v20, v178                              // 000000005A84: 0B656514
	v_mul_f32_e32 v179, v20, v179                              // 000000005A88: 0B676714
	v_cvt_f32_i32_e32 v180, v180                               // 000000005A8C: 7F680BB4
	v_cvt_f32_i32_e32 v181, v181                               // 000000005A90: 7F6A0BB5
	v_cvt_f32_i32_e32 v182, v182                               // 000000005A94: 7F6C0BB6
	v_cvt_f32_i32_e32 v183, v183                               // 000000005A98: 7F6E0BB7
	v_mul_f32_e32 v180, v25, v180                              // 000000005A9C: 0B696919
	v_mul_f32_e32 v181, v25, v181                              // 000000005AA0: 0B6B6B19
	v_mul_f32_e32 v182, v25, v182                              // 000000005AA4: 0B6D6D19
	v_mul_f32_e32 v183, v25, v183                              // 000000005AA8: 0B6F6F19
	v_mul_f32_dpp v180, v12, v180 row_newbcast:0 row_mask:0xf bank_mask:0xf// 000000005AAC: 0B6968FA FF01500C
	v_mul_f32_dpp v181, v12, v181 row_newbcast:1 row_mask:0xf bank_mask:0xf// 000000005AB4: 0B6B6AFA FF01510C
	v_mul_f32_dpp v182, v12, v182 row_newbcast:2 row_mask:0xf bank_mask:0xf// 000000005ABC: 0B6D6CFA FF01520C
	v_mul_f32_dpp v183, v12, v183 row_newbcast:3 row_mask:0xf bank_mask:0xf// 000000005AC4: 0B6F6EFA FF01530C
	v_mul_f32_e32 v180, v21, v180                              // 000000005ACC: 0B696915
	v_mul_f32_e32 v181, v21, v181                              // 000000005AD0: 0B6B6B15
	v_mul_f32_e32 v182, v21, v182                              // 000000005AD4: 0B6D6D15
	v_mul_f32_e32 v183, v21, v183                              // 000000005AD8: 0B6F6F15
	v_cvt_f32_i32_e32 v184, v184                               // 000000005ADC: 7F700BB8
	v_cvt_f32_i32_e32 v185, v185                               // 000000005AE0: 7F720BB9
	v_cvt_f32_i32_e32 v186, v186                               // 000000005AE4: 7F740BBA
	v_cvt_f32_i32_e32 v187, v187                               // 000000005AE8: 7F760BBB
	v_mul_f32_e32 v184, v24, v184                              // 000000005AEC: 0B717118
	v_mul_f32_e32 v185, v24, v185                              // 000000005AF0: 0B737318
	v_mul_f32_e32 v186, v24, v186                              // 000000005AF4: 0B757518
	v_mul_f32_e32 v187, v24, v187                              // 000000005AF8: 0B777718
	v_mul_f32_dpp v184, v12, v184 row_newbcast:4 row_mask:0xf bank_mask:0xf// 000000005AFC: 0B7170FA FF01540C
	v_mul_f32_dpp v185, v12, v185 row_newbcast:5 row_mask:0xf bank_mask:0xf// 000000005B04: 0B7372FA FF01550C
	v_mul_f32_dpp v186, v12, v186 row_newbcast:6 row_mask:0xf bank_mask:0xf// 000000005B0C: 0B7574FA FF01560C
	v_mul_f32_dpp v187, v12, v187 row_newbcast:7 row_mask:0xf bank_mask:0xf// 000000005B14: 0B7776FA FF01570C
	v_mul_f32_e32 v184, v20, v184                              // 000000005B1C: 0B717114
	v_mul_f32_e32 v185, v20, v185                              // 000000005B20: 0B737314
	v_mul_f32_e32 v186, v20, v186                              // 000000005B24: 0B757514
	v_mul_f32_e32 v187, v20, v187                              // 000000005B28: 0B777714
	v_cvt_f32_i32_e32 v188, v188                               // 000000005B2C: 7F780BBC
	v_cvt_f32_i32_e32 v189, v189                               // 000000005B30: 7F7A0BBD
	v_cvt_f32_i32_e32 v190, v190                               // 000000005B34: 7F7C0BBE
	v_cvt_f32_i32_e32 v191, v191                               // 000000005B38: 7F7E0BBF
	v_mul_f32_e32 v188, v25, v188                              // 000000005B3C: 0B797919
	v_mul_f32_e32 v189, v25, v189                              // 000000005B40: 0B7B7B19
	v_mul_f32_e32 v190, v25, v190                              // 000000005B44: 0B7D7D19
	v_mul_f32_e32 v191, v25, v191                              // 000000005B48: 0B7F7F19
	v_mul_f32_dpp v188, v12, v188 row_newbcast:4 row_mask:0xf bank_mask:0xf// 000000005B4C: 0B7978FA FF01540C
	v_mul_f32_dpp v189, v12, v189 row_newbcast:5 row_mask:0xf bank_mask:0xf// 000000005B54: 0B7B7AFA FF01550C
	v_mul_f32_dpp v190, v12, v190 row_newbcast:6 row_mask:0xf bank_mask:0xf// 000000005B5C: 0B7D7CFA FF01560C
	v_mul_f32_dpp v191, v12, v191 row_newbcast:7 row_mask:0xf bank_mask:0xf// 000000005B64: 0B7F7EFA FF01570C
	v_mul_f32_e32 v188, v21, v188                              // 000000005B6C: 0B797915
	v_mul_f32_e32 v189, v21, v189                              // 000000005B70: 0B7B7B15
	v_mul_f32_e32 v190, v21, v190                              // 000000005B74: 0B7D7D15
	v_mul_f32_e32 v191, v21, v191                              // 000000005B78: 0B7F7F15
	v_cvt_f32_i32_e32 v192, v192                               // 000000005B7C: 7F800BC0
	v_cvt_f32_i32_e32 v193, v193                               // 000000005B80: 7F820BC1
	v_cvt_f32_i32_e32 v194, v194                               // 000000005B84: 7F840BC2
	v_cvt_f32_i32_e32 v195, v195                               // 000000005B88: 7F860BC3
	v_mul_f32_e32 v192, v24, v192                              // 000000005B8C: 0B818118
	v_mul_f32_e32 v193, v24, v193                              // 000000005B90: 0B838318
	v_mul_f32_e32 v194, v24, v194                              // 000000005B94: 0B858518
	v_mul_f32_e32 v195, v24, v195                              // 000000005B98: 0B878718
	v_mul_f32_dpp v192, v12, v192 row_newbcast:8 row_mask:0xf bank_mask:0xf// 000000005B9C: 0B8180FA FF01580C
	v_mul_f32_dpp v193, v12, v193 row_newbcast:9 row_mask:0xf bank_mask:0xf// 000000005BA4: 0B8382FA FF01590C
	v_mul_f32_dpp v194, v12, v194 row_newbcast:10 row_mask:0xf bank_mask:0xf// 000000005BAC: 0B8584FA FF015A0C
	v_mul_f32_dpp v195, v12, v195 row_newbcast:11 row_mask:0xf bank_mask:0xf// 000000005BB4: 0B8786FA FF015B0C
	v_mul_f32_e32 v192, v20, v192                              // 000000005BBC: 0B818114
	v_mul_f32_e32 v193, v20, v193                              // 000000005BC0: 0B838314
	v_mul_f32_e32 v194, v20, v194                              // 000000005BC4: 0B858514
	v_mul_f32_e32 v195, v20, v195                              // 000000005BC8: 0B878714
	v_cvt_f32_i32_e32 v196, v196                               // 000000005BCC: 7F880BC4
	v_cvt_f32_i32_e32 v197, v197                               // 000000005BD0: 7F8A0BC5
	v_cvt_f32_i32_e32 v198, v198                               // 000000005BD4: 7F8C0BC6
	v_cvt_f32_i32_e32 v199, v199                               // 000000005BD8: 7F8E0BC7
	v_mul_f32_e32 v196, v25, v196                              // 000000005BDC: 0B898919
	v_mul_f32_e32 v197, v25, v197                              // 000000005BE0: 0B8B8B19
	v_mul_f32_e32 v198, v25, v198                              // 000000005BE4: 0B8D8D19
	v_mul_f32_e32 v199, v25, v199                              // 000000005BE8: 0B8F8F19
	v_mul_f32_dpp v196, v12, v196 row_newbcast:8 row_mask:0xf bank_mask:0xf// 000000005BEC: 0B8988FA FF01580C
	v_mul_f32_dpp v197, v12, v197 row_newbcast:9 row_mask:0xf bank_mask:0xf// 000000005BF4: 0B8B8AFA FF01590C
	v_mul_f32_dpp v198, v12, v198 row_newbcast:10 row_mask:0xf bank_mask:0xf// 000000005BFC: 0B8D8CFA FF015A0C
	v_mul_f32_dpp v199, v12, v199 row_newbcast:11 row_mask:0xf bank_mask:0xf// 000000005C04: 0B8F8EFA FF015B0C
	v_mul_f32_e32 v196, v21, v196                              // 000000005C0C: 0B898915
	v_mul_f32_e32 v197, v21, v197                              // 000000005C10: 0B8B8B15
	v_mul_f32_e32 v198, v21, v198                              // 000000005C14: 0B8D8D15
	v_mul_f32_e32 v199, v21, v199                              // 000000005C18: 0B8F8F15
	v_cvt_f32_i32_e32 v200, v200                               // 000000005C1C: 7F900BC8
	v_cvt_f32_i32_e32 v201, v201                               // 000000005C20: 7F920BC9
	v_cvt_f32_i32_e32 v202, v202                               // 000000005C24: 7F940BCA
	v_cvt_f32_i32_e32 v203, v203                               // 000000005C28: 7F960BCB
	v_mul_f32_e32 v200, v24, v200                              // 000000005C2C: 0B919118
	v_mul_f32_e32 v201, v24, v201                              // 000000005C30: 0B939318
	v_mul_f32_e32 v202, v24, v202                              // 000000005C34: 0B959518
	v_mul_f32_e32 v203, v24, v203                              // 000000005C38: 0B979718
	v_mul_f32_dpp v200, v12, v200 row_newbcast:12 row_mask:0xf bank_mask:0xf// 000000005C3C: 0B9190FA FF015C0C
	v_mul_f32_dpp v201, v12, v201 row_newbcast:13 row_mask:0xf bank_mask:0xf// 000000005C44: 0B9392FA FF015D0C
	v_mul_f32_dpp v202, v12, v202 row_newbcast:14 row_mask:0xf bank_mask:0xf// 000000005C4C: 0B9594FA FF015E0C
	v_mul_f32_dpp v203, v12, v203 row_newbcast:15 row_mask:0xf bank_mask:0xf// 000000005C54: 0B9796FA FF015F0C
	v_mul_f32_e32 v200, v20, v200                              // 000000005C5C: 0B919114
	v_mul_f32_e32 v201, v20, v201                              // 000000005C60: 0B939314
	v_mul_f32_e32 v202, v20, v202                              // 000000005C64: 0B959514
	v_mul_f32_e32 v203, v20, v203                              // 000000005C68: 0B979714
	v_cvt_f32_i32_e32 v204, v204                               // 000000005C6C: 7F980BCC
	v_cvt_f32_i32_e32 v205, v205                               // 000000005C70: 7F9A0BCD
	v_cvt_f32_i32_e32 v206, v206                               // 000000005C74: 7F9C0BCE
	v_cvt_f32_i32_e32 v207, v207                               // 000000005C78: 7F9E0BCF
	v_mul_f32_e32 v204, v25, v204                              // 000000005C7C: 0B999919
	v_mul_f32_e32 v205, v25, v205                              // 000000005C80: 0B9B9B19
	v_mul_f32_e32 v206, v25, v206                              // 000000005C84: 0B9D9D19
	v_mul_f32_e32 v207, v25, v207                              // 000000005C88: 0B9F9F19
	v_mul_f32_dpp v204, v12, v204 row_newbcast:12 row_mask:0xf bank_mask:0xf// 000000005C8C: 0B9998FA FF015C0C
	v_mul_f32_dpp v205, v12, v205 row_newbcast:13 row_mask:0xf bank_mask:0xf// 000000005C94: 0B9B9AFA FF015D0C
	v_mul_f32_dpp v206, v12, v206 row_newbcast:14 row_mask:0xf bank_mask:0xf// 000000005C9C: 0B9D9CFA FF015E0C
	v_mul_f32_dpp v207, v12, v207 row_newbcast:15 row_mask:0xf bank_mask:0xf// 000000005CA4: 0B9F9EFA FF015F0C
	v_mul_f32_e32 v204, v21, v204                              // 000000005CAC: 0B999915
	v_mul_f32_e32 v205, v21, v205                              // 000000005CB0: 0B9B9B15
	v_mul_f32_e32 v206, v21, v206                              // 000000005CB4: 0B9D9D15
	v_mul_f32_e32 v207, v21, v207                              // 000000005CB8: 0B9F9F15
	v_cmp_u_f32_e64 s[48:49], v176, v176                       // 000000005CBC: D0480030 000361B0
	v_add3_u32 v44, v176, v47, 1                               // 000000005CC4: D1FF002C 02065FB0
	v_cndmask_b32_e64 v48, v44, v46, s[48:49]                  // 000000005CCC: D1000030 00C25D2C
	v_cmp_u_f32_e64 s[48:49], v177, v177                       // 000000005CD4: D0480030 000363B1
	v_add3_u32 v44, v177, v47, 1                               // 000000005CDC: D1FF002C 02065FB1
	v_cndmask_b32_e64 v49, v44, v46, s[48:49]                  // 000000005CE4: D1000031 00C25D2C
	v_perm_b32 v176, v49, v48, s52                             // 000000005CEC: D1ED00B0 00D26131
	v_cmp_u_f32_e64 s[48:49], v178, v178                       // 000000005CF4: D0480030 000365B2
	v_add3_u32 v44, v178, v47, 1                               // 000000005CFC: D1FF002C 02065FB2
	v_cndmask_b32_e64 v48, v44, v46, s[48:49]                  // 000000005D04: D1000030 00C25D2C
	v_cmp_u_f32_e64 s[48:49], v179, v179                       // 000000005D0C: D0480030 000367B3
	v_add3_u32 v44, v179, v47, 1                               // 000000005D14: D1FF002C 02065FB3
	v_cndmask_b32_e64 v49, v44, v46, s[48:49]                  // 000000005D1C: D1000031 00C25D2C
	v_perm_b32 v177, v49, v48, s52                             // 000000005D24: D1ED00B1 00D26131
	v_cmp_u_f32_e64 s[48:49], v180, v180                       // 000000005D2C: D0480030 000369B4
	v_add3_u32 v44, v180, v47, 1                               // 000000005D34: D1FF002C 02065FB4
	v_cndmask_b32_e64 v48, v44, v46, s[48:49]                  // 000000005D3C: D1000030 00C25D2C
	v_cmp_u_f32_e64 s[48:49], v181, v181                       // 000000005D44: D0480030 00036BB5
	v_add3_u32 v44, v181, v47, 1                               // 000000005D4C: D1FF002C 02065FB5
	v_cndmask_b32_e64 v49, v44, v46, s[48:49]                  // 000000005D54: D1000031 00C25D2C
	v_perm_b32 v178, v49, v48, s52                             // 000000005D5C: D1ED00B2 00D26131
	v_cmp_u_f32_e64 s[48:49], v182, v182                       // 000000005D64: D0480030 00036DB6
	v_add3_u32 v44, v182, v47, 1                               // 000000005D6C: D1FF002C 02065FB6
	v_cndmask_b32_e64 v48, v44, v46, s[48:49]                  // 000000005D74: D1000030 00C25D2C
	v_cmp_u_f32_e64 s[48:49], v183, v183                       // 000000005D7C: D0480030 00036FB7
	v_add3_u32 v44, v183, v47, 1                               // 000000005D84: D1FF002C 02065FB7
	v_cndmask_b32_e64 v49, v44, v46, s[48:49]                  // 000000005D8C: D1000031 00C25D2C
	v_perm_b32 v179, v49, v48, s52                             // 000000005D94: D1ED00B3 00D26131
	v_cmp_u_f32_e64 s[48:49], v184, v184                       // 000000005D9C: D0480030 000371B8
	v_add3_u32 v44, v184, v47, 1                               // 000000005DA4: D1FF002C 02065FB8
	v_cndmask_b32_e64 v48, v44, v46, s[48:49]                  // 000000005DAC: D1000030 00C25D2C
	v_cmp_u_f32_e64 s[48:49], v185, v185                       // 000000005DB4: D0480030 000373B9
	v_add3_u32 v44, v185, v47, 1                               // 000000005DBC: D1FF002C 02065FB9
	v_cndmask_b32_e64 v49, v44, v46, s[48:49]                  // 000000005DC4: D1000031 00C25D2C
	v_perm_b32 v180, v49, v48, s52                             // 000000005DCC: D1ED00B4 00D26131
	v_cmp_u_f32_e64 s[48:49], v186, v186                       // 000000005DD4: D0480030 000375BA
	v_add3_u32 v44, v186, v47, 1                               // 000000005DDC: D1FF002C 02065FBA
	v_cndmask_b32_e64 v48, v44, v46, s[48:49]                  // 000000005DE4: D1000030 00C25D2C
	v_cmp_u_f32_e64 s[48:49], v187, v187                       // 000000005DEC: D0480030 000377BB
	v_add3_u32 v44, v187, v47, 1                               // 000000005DF4: D1FF002C 02065FBB
	v_cndmask_b32_e64 v49, v44, v46, s[48:49]                  // 000000005DFC: D1000031 00C25D2C
	v_perm_b32 v181, v49, v48, s52                             // 000000005E04: D1ED00B5 00D26131
	v_cmp_u_f32_e64 s[48:49], v188, v188                       // 000000005E0C: D0480030 000379BC
	v_add3_u32 v44, v188, v47, 1                               // 000000005E14: D1FF002C 02065FBC
	v_cndmask_b32_e64 v48, v44, v46, s[48:49]                  // 000000005E1C: D1000030 00C25D2C
	v_cmp_u_f32_e64 s[48:49], v189, v189                       // 000000005E24: D0480030 00037BBD
	v_add3_u32 v44, v189, v47, 1                               // 000000005E2C: D1FF002C 02065FBD
	v_cndmask_b32_e64 v49, v44, v46, s[48:49]                  // 000000005E34: D1000031 00C25D2C
	v_perm_b32 v182, v49, v48, s52                             // 000000005E3C: D1ED00B6 00D26131
	v_cmp_u_f32_e64 s[48:49], v190, v190                       // 000000005E44: D0480030 00037DBE
	v_add3_u32 v44, v190, v47, 1                               // 000000005E4C: D1FF002C 02065FBE
	v_cndmask_b32_e64 v48, v44, v46, s[48:49]                  // 000000005E54: D1000030 00C25D2C
	v_cmp_u_f32_e64 s[48:49], v191, v191                       // 000000005E5C: D0480030 00037FBF
	v_add3_u32 v44, v191, v47, 1                               // 000000005E64: D1FF002C 02065FBF
	v_cndmask_b32_e64 v49, v44, v46, s[48:49]                  // 000000005E6C: D1000031 00C25D2C
	v_perm_b32 v183, v49, v48, s52                             // 000000005E74: D1ED00B7 00D26131
	v_cmp_u_f32_e64 s[48:49], v192, v192                       // 000000005E7C: D0480030 000381C0
	v_add3_u32 v44, v192, v47, 1                               // 000000005E84: D1FF002C 02065FC0
	v_cndmask_b32_e64 v48, v44, v46, s[48:49]                  // 000000005E8C: D1000030 00C25D2C
	v_cmp_u_f32_e64 s[48:49], v193, v193                       // 000000005E94: D0480030 000383C1
	v_add3_u32 v44, v193, v47, 1                               // 000000005E9C: D1FF002C 02065FC1
	v_cndmask_b32_e64 v49, v44, v46, s[48:49]                  // 000000005EA4: D1000031 00C25D2C
	v_perm_b32 v184, v49, v48, s52                             // 000000005EAC: D1ED00B8 00D26131
	v_cmp_u_f32_e64 s[48:49], v194, v194                       // 000000005EB4: D0480030 000385C2
	v_add3_u32 v44, v194, v47, 1                               // 000000005EBC: D1FF002C 02065FC2
	v_cndmask_b32_e64 v48, v44, v46, s[48:49]                  // 000000005EC4: D1000030 00C25D2C
	v_cmp_u_f32_e64 s[48:49], v195, v195                       // 000000005ECC: D0480030 000387C3
	v_add3_u32 v44, v195, v47, 1                               // 000000005ED4: D1FF002C 02065FC3
	v_cndmask_b32_e64 v49, v44, v46, s[48:49]                  // 000000005EDC: D1000031 00C25D2C
	v_perm_b32 v185, v49, v48, s52                             // 000000005EE4: D1ED00B9 00D26131
	v_cmp_u_f32_e64 s[48:49], v196, v196                       // 000000005EEC: D0480030 000389C4
	v_add3_u32 v44, v196, v47, 1                               // 000000005EF4: D1FF002C 02065FC4
	v_cndmask_b32_e64 v48, v44, v46, s[48:49]                  // 000000005EFC: D1000030 00C25D2C
	v_cmp_u_f32_e64 s[48:49], v197, v197                       // 000000005F04: D0480030 00038BC5
	v_add3_u32 v44, v197, v47, 1                               // 000000005F0C: D1FF002C 02065FC5
	v_cndmask_b32_e64 v49, v44, v46, s[48:49]                  // 000000005F14: D1000031 00C25D2C
	v_perm_b32 v186, v49, v48, s52                             // 000000005F1C: D1ED00BA 00D26131
	v_cmp_u_f32_e64 s[48:49], v198, v198                       // 000000005F24: D0480030 00038DC6
	v_add3_u32 v44, v198, v47, 1                               // 000000005F2C: D1FF002C 02065FC6
	v_cndmask_b32_e64 v48, v44, v46, s[48:49]                  // 000000005F34: D1000030 00C25D2C
	v_cmp_u_f32_e64 s[48:49], v199, v199                       // 000000005F3C: D0480030 00038FC7
	v_add3_u32 v44, v199, v47, 1                               // 000000005F44: D1FF002C 02065FC7
	v_cndmask_b32_e64 v49, v44, v46, s[48:49]                  // 000000005F4C: D1000031 00C25D2C
	v_perm_b32 v187, v49, v48, s52                             // 000000005F54: D1ED00BB 00D26131
	v_cmp_u_f32_e64 s[48:49], v200, v200                       // 000000005F5C: D0480030 000391C8
	v_add3_u32 v44, v200, v47, 1                               // 000000005F64: D1FF002C 02065FC8
	v_cndmask_b32_e64 v48, v44, v46, s[48:49]                  // 000000005F6C: D1000030 00C25D2C
	v_cmp_u_f32_e64 s[48:49], v201, v201                       // 000000005F74: D0480030 000393C9
	v_add3_u32 v44, v201, v47, 1                               // 000000005F7C: D1FF002C 02065FC9
	v_cndmask_b32_e64 v49, v44, v46, s[48:49]                  // 000000005F84: D1000031 00C25D2C
	v_perm_b32 v188, v49, v48, s52                             // 000000005F8C: D1ED00BC 00D26131
	v_cmp_u_f32_e64 s[48:49], v202, v202                       // 000000005F94: D0480030 000395CA
	v_add3_u32 v44, v202, v47, 1                               // 000000005F9C: D1FF002C 02065FCA
	v_cndmask_b32_e64 v48, v44, v46, s[48:49]                  // 000000005FA4: D1000030 00C25D2C
	v_cmp_u_f32_e64 s[48:49], v203, v203                       // 000000005FAC: D0480030 000397CB
	v_add3_u32 v44, v203, v47, 1                               // 000000005FB4: D1FF002C 02065FCB
	v_cndmask_b32_e64 v49, v44, v46, s[48:49]                  // 000000005FBC: D1000031 00C25D2C
	v_perm_b32 v189, v49, v48, s52                             // 000000005FC4: D1ED00BD 00D26131
	v_cmp_u_f32_e64 s[48:49], v204, v204                       // 000000005FCC: D0480030 000399CC
	v_add3_u32 v44, v204, v47, 1                               // 000000005FD4: D1FF002C 02065FCC
	v_cndmask_b32_e64 v48, v44, v46, s[48:49]                  // 000000005FDC: D1000030 00C25D2C
	v_cmp_u_f32_e64 s[48:49], v205, v205                       // 000000005FE4: D0480030 00039BCD
	v_add3_u32 v44, v205, v47, 1                               // 000000005FEC: D1FF002C 02065FCD
	v_cndmask_b32_e64 v49, v44, v46, s[48:49]                  // 000000005FF4: D1000031 00C25D2C
	v_perm_b32 v190, v49, v48, s52                             // 000000005FFC: D1ED00BE 00D26131
	v_cmp_u_f32_e64 s[48:49], v206, v206                       // 000000006004: D0480030 00039DCE
	v_add3_u32 v44, v206, v47, 1                               // 00000000600C: D1FF002C 02065FCE
	v_cndmask_b32_e64 v48, v44, v46, s[48:49]                  // 000000006014: D1000030 00C25D2C
	v_cmp_u_f32_e64 s[48:49], v207, v207                       // 00000000601C: D0480030 00039FCF
	v_add3_u32 v44, v207, v47, 1                               // 000000006024: D1FF002C 02065FCF
	v_cndmask_b32_e64 v49, v44, v46, s[48:49]                  // 00000000602C: D1000031 00C25D2C
	v_perm_b32 v191, v49, v48, s52                             // 000000006034: D1ED00BF 00D26131
	ds_write_b64 v3, v[176:177] offset:30976                   // 00000000603C: D89A7900 0000B003
	ds_write_b64 v3, v[178:179] offset:39680                   // 000000006044: D89A9B00 0000B203
	ds_write_b64 v3, v[180:181] offset:33152                   // 00000000604C: D89A8180 0000B403
	ds_write_b64 v3, v[182:183] offset:41856                   // 000000006054: D89AA380 0000B603
	ds_write_b64 v3, v[184:185] offset:35328                   // 00000000605C: D89A8A00 0000B803
	ds_write_b64 v3, v[186:187] offset:44032                   // 000000006064: D89AAC00 0000BA03
	ds_write_b64 v3, v[188:189] offset:37504                   // 00000000606C: D89A9280 0000BC03
	ds_write_b64 v3, v[190:191] offset:46208                   // 000000006074: D89AB480 0000BE03
	s_waitcnt lgkmcnt(0)                                       // 00000000607C: BF8CC07F
	s_barrier                                                  // 000000006080: BF8A0000
	ds_read_b32 v64, v4 offset:30976                           // 000000006084: D86C7900 40000004
	ds_read_b32 v65, v4 offset:35328                           // 00000000608C: D86C8A00 41000004
	ds_read_b32 v66, v4 offset:31008                           // 000000006094: D86C7920 42000004
	ds_read_b32 v67, v4 offset:35360                           // 00000000609C: D86C8A20 43000004
	ds_read_b32 v68, v4 offset:31040                           // 0000000060A4: D86C7940 44000004
	ds_read_b32 v69, v4 offset:35392                           // 0000000060AC: D86C8A40 45000004
	ds_read_b32 v70, v4 offset:31072                           // 0000000060B4: D86C7960 46000004
	ds_read_b32 v71, v4 offset:35424                           // 0000000060BC: D86C8A60 47000004
	ds_read_b32 v72, v4 offset:39680                           // 0000000060C4: D86C9B00 48000004
	ds_read_b32 v73, v4 offset:44032                           // 0000000060CC: D86CAC00 49000004
	ds_read_b32 v74, v4 offset:39712                           // 0000000060D4: D86C9B20 4A000004
	ds_read_b32 v75, v4 offset:44064                           // 0000000060DC: D86CAC20 4B000004
	ds_read_b32 v76, v4 offset:39744                           // 0000000060E4: D86C9B40 4C000004
	ds_read_b32 v77, v4 offset:44096                           // 0000000060EC: D86CAC40 4D000004
	ds_read_b32 v78, v4 offset:39776                           // 0000000060F4: D86C9B60 4E000004
	ds_read_b32 v79, v4 offset:44128                           // 0000000060FC: D86CAC60 4F000004
	s_waitcnt lgkmcnt(0)                                       // 000000006104: BF8CC07F
	s_mov_b64 exec, s[20:21]                                   // 000000006108: BEFE0114
	global_atomic_pk_add_f16 v80, v64, s[8:9]                  // 00000000610C: DD388000 00084050
	s_mov_b64 exec, s[36:37]                                   // 000000006114: BEFE0124
	s_mov_b64 exec, s[20:21]                                   // 000000006118: BEFE0114
	global_atomic_pk_add_f16 v80, v65, s[8:9] offset:256       // 00000000611C: DD388100 00084150
	s_mov_b64 exec, s[36:37]                                   // 000000006124: BEFE0124
	s_mov_b64 exec, s[22:23]                                   // 000000006128: BEFE0116
	global_atomic_pk_add_f16 v82, v66, s[8:9]                  // 00000000612C: DD388000 00084252
	s_mov_b64 exec, s[36:37]                                   // 000000006134: BEFE0124
	s_mov_b64 exec, s[22:23]                                   // 000000006138: BEFE0116
	global_atomic_pk_add_f16 v82, v67, s[8:9] offset:256       // 00000000613C: DD388100 00084352
	s_mov_b64 exec, s[36:37]                                   // 000000006144: BEFE0124
	s_mov_b64 exec, s[24:25]                                   // 000000006148: BEFE0118
	global_atomic_pk_add_f16 v84, v68, s[8:9]                  // 00000000614C: DD388000 00084454
	s_mov_b64 exec, s[36:37]                                   // 000000006154: BEFE0124
	s_mov_b64 exec, s[24:25]                                   // 000000006158: BEFE0118
	global_atomic_pk_add_f16 v84, v69, s[8:9] offset:256       // 00000000615C: DD388100 00084554
	s_mov_b64 exec, s[36:37]                                   // 000000006164: BEFE0124
	s_mov_b64 exec, s[26:27]                                   // 000000006168: BEFE011A
	global_atomic_pk_add_f16 v86, v70, s[8:9]                  // 00000000616C: DD388000 00084656
	s_mov_b64 exec, s[36:37]                                   // 000000006174: BEFE0124
	s_mov_b64 exec, s[26:27]                                   // 000000006178: BEFE011A
	global_atomic_pk_add_f16 v86, v71, s[8:9] offset:256       // 00000000617C: DD388100 00084756
	s_mov_b64 exec, s[36:37]                                   // 000000006184: BEFE0124
	s_mov_b64 exec, s[28:29]                                   // 000000006188: BEFE011C
	global_atomic_pk_add_f16 v88, v72, s[8:9]                  // 00000000618C: DD388000 00084858
	s_mov_b64 exec, s[36:37]                                   // 000000006194: BEFE0124
	s_mov_b64 exec, s[28:29]                                   // 000000006198: BEFE011C
	global_atomic_pk_add_f16 v88, v73, s[8:9] offset:256       // 00000000619C: DD388100 00084958
	s_mov_b64 exec, s[36:37]                                   // 0000000061A4: BEFE0124
	s_mov_b64 exec, s[30:31]                                   // 0000000061A8: BEFE011E
	global_atomic_pk_add_f16 v90, v74, s[8:9]                  // 0000000061AC: DD388000 00084A5A
	s_mov_b64 exec, s[36:37]                                   // 0000000061B4: BEFE0124
	s_mov_b64 exec, s[30:31]                                   // 0000000061B8: BEFE011E
	global_atomic_pk_add_f16 v90, v75, s[8:9] offset:256       // 0000000061BC: DD388100 00084B5A
	s_mov_b64 exec, s[36:37]                                   // 0000000061C4: BEFE0124
	s_mov_b64 exec, s[32:33]                                   // 0000000061C8: BEFE0120
	global_atomic_pk_add_f16 v92, v76, s[8:9]                  // 0000000061CC: DD388000 00084C5C
	s_mov_b64 exec, s[36:37]                                   // 0000000061D4: BEFE0124
	s_mov_b64 exec, s[32:33]                                   // 0000000061D8: BEFE0120
	global_atomic_pk_add_f16 v92, v77, s[8:9] offset:256       // 0000000061DC: DD388100 00084D5C
	s_mov_b64 exec, s[36:37]                                   // 0000000061E4: BEFE0124
	s_mov_b64 exec, s[34:35]                                   // 0000000061E8: BEFE0122
	global_atomic_pk_add_f16 v94, v78, s[8:9]                  // 0000000061EC: DD388000 00084E5E
	s_mov_b64 exec, s[36:37]                                   // 0000000061F4: BEFE0124
	s_mov_b64 exec, s[34:35]                                   // 0000000061F8: BEFE0122
	global_atomic_pk_add_f16 v94, v79, s[8:9] offset:256       // 0000000061FC: DD388100 00084F5E
	s_mov_b64 exec, s[36:37]                                   // 000000006204: BEFE0124
	s_add_u32 s8, s59, s8                                      // 000000006208: 8008083B
	s_addc_u32 s9, 0, s9                                       // 00000000620C: 82090980
	s_addk_i32 s80, 0x100                                      // 000000006210: B7500100
	s_cmp_lt_i32 s80, s81                                      // 000000006214: BF045150
	s_cbranch_scc0 label_100D                                  // 000000006218: BF840306
	s_waitcnt vmcnt(37)                                        // 00000000621C: BF8C8F75
	s_barrier                                                  // 000000006220: BF8A0000
	v_mfma_i32_16x16x32_i8 v[208:211], a[96:97], v[128:129], 0 // 000000006224: D3D700D0 0A030160
	v_mfma_i32_16x16x32_i8 v[208:211], a[98:99], v[130:131], v[208:211]// 00000000622C: D3D700D0 0F430562
	buffer_load_dwordx4 a[0:3], v40, s[12:15], 0 offen         // 000000006234: E05C1000 80830028
	v_mfma_i32_16x16x32_i8 v[212:215], a[96:97], v[152:153], 0 // 00000000623C: D3D700D4 0A033160
	v_mfma_i32_16x16x32_i8 v[212:215], a[98:99], v[154:155], v[212:215]// 000000006244: D3D700D4 0F533562
	v_mfma_i32_16x16x32_i8 v[216:219], a[100:101], v[128:129], 0// 00000000624C: D3D700D8 0A030164
	v_mfma_i32_16x16x32_i8 v[216:219], a[102:103], v[130:131], v[216:219]// 000000006254: D3D700D8 0F630566
	buffer_load_dwordx4 a[4:7], v41, s[12:15], 0 offen         // 00000000625C: E05C1000 80830429
	v_mfma_i32_16x16x32_i8 v[220:223], a[100:101], v[152:153], 0// 000000006264: D3D700DC 0A033164
	v_mfma_i32_16x16x32_i8 v[220:223], a[102:103], v[154:155], v[220:223]// 00000000626C: D3D700DC 0F733566
	v_mfma_i32_16x16x32_i8 v[224:227], a[104:105], v[128:129], 0// 000000006274: D3D700E0 0A030168
	v_mfma_i32_16x16x32_i8 v[224:227], a[106:107], v[130:131], v[224:227]// 00000000627C: D3D700E0 0F83056A
	buffer_load_dwordx4 a[8:11], v42, s[12:15], 0 offen        // 000000006284: E05C1000 8083082A
	v_mfma_i32_16x16x32_i8 v[228:231], a[104:105], v[152:153], 0// 00000000628C: D3D700E4 0A033168
	v_mfma_i32_16x16x32_i8 v[228:231], a[106:107], v[154:155], v[228:231]// 000000006294: D3D700E4 0F93356A
	v_mfma_i32_16x16x32_i8 v[232:235], a[108:109], v[128:129], 0// 00000000629C: D3D700E8 0A03016C
	v_mfma_i32_16x16x32_i8 v[232:235], a[110:111], v[130:131], v[232:235]// 0000000062A4: D3D700E8 0FA3056E
	buffer_load_dwordx4 a[12:15], v43, s[12:15], 0 offen       // 0000000062AC: E05C1000 80830C2B
	s_add_u32 s12, s78, s12                                    // 0000000062B4: 800C0C4E
	s_addc_u32 s13, 0, s13                                     // 0000000062B8: 820D0D80
	v_mfma_i32_16x16x32_i8 v[236:239], a[108:109], v[152:153], 0// 0000000062BC: D3D700EC 0A03316C
	v_mfma_i32_16x16x32_i8 v[236:239], a[110:111], v[154:155], v[236:239]// 0000000062C4: D3D700EC 0FB3356E
	s_waitcnt vmcnt(37)                                        // 0000000062CC: BF8C8F75
	v_mfma_i32_16x16x32_i8 v[208:211], a[112:113], v[132:133], v[208:211]// 0000000062D0: D3D700D0 0F430970
	v_mfma_i32_16x16x32_i8 v[208:211], a[114:115], v[134:135], v[208:211]// 0000000062D8: D3D700D0 0F430D72
	buffer_load_dwordx4 a[16:19], v40, s[12:15], 0 offen       // 0000000062E0: E05C1000 80831028
	v_mfma_i32_16x16x32_i8 v[212:215], a[112:113], v[156:157], v[212:215]// 0000000062E8: D3D700D4 0F533970
	v_mfma_i32_16x16x32_i8 v[212:215], a[114:115], v[158:159], v[212:215]// 0000000062F0: D3D700D4 0F533D72
	v_mfma_i32_16x16x32_i8 v[216:219], a[116:117], v[132:133], v[216:219]// 0000000062F8: D3D700D8 0F630974
	v_mfma_i32_16x16x32_i8 v[216:219], a[118:119], v[134:135], v[216:219]// 000000006300: D3D700D8 0F630D76
	buffer_load_dwordx4 a[20:23], v41, s[12:15], 0 offen       // 000000006308: E05C1000 80831429
	v_mfma_i32_16x16x32_i8 v[220:223], a[116:117], v[156:157], v[220:223]// 000000006310: D3D700DC 0F733974
	v_mfma_i32_16x16x32_i8 v[220:223], a[118:119], v[158:159], v[220:223]// 000000006318: D3D700DC 0F733D76
	v_mfma_i32_16x16x32_i8 v[224:227], a[120:121], v[132:133], v[224:227]// 000000006320: D3D700E0 0F830978
	v_mfma_i32_16x16x32_i8 v[224:227], a[122:123], v[134:135], v[224:227]// 000000006328: D3D700E0 0F830D7A
	buffer_load_dwordx4 a[24:27], v42, s[12:15], 0 offen       // 000000006330: E05C1000 8083182A
	v_mfma_i32_16x16x32_i8 v[228:231], a[120:121], v[156:157], v[228:231]// 000000006338: D3D700E4 0F933978
	v_mfma_i32_16x16x32_i8 v[228:231], a[122:123], v[158:159], v[228:231]// 000000006340: D3D700E4 0F933D7A
	v_mfma_i32_16x16x32_i8 v[232:235], a[124:125], v[132:133], v[232:235]// 000000006348: D3D700E8 0FA3097C
	v_mfma_i32_16x16x32_i8 v[232:235], a[126:127], v[134:135], v[232:235]// 000000006350: D3D700E8 0FA30D7E
	buffer_load_dwordx4 a[28:31], v43, s[12:15], 0 offen       // 000000006358: E05C1000 80831C2B
	s_add_u32 s12, s78, s12                                    // 000000006360: 800C0C4E
	s_addc_u32 s13, 0, s13                                     // 000000006364: 820D0D80
	v_mfma_i32_16x16x32_i8 v[236:239], a[124:125], v[156:157], v[236:239]// 000000006368: D3D700EC 0FB3397C
	v_mfma_i32_16x16x32_i8 v[236:239], a[126:127], v[158:159], v[236:239]// 000000006370: D3D700EC 0FB33D7E
	s_waitcnt vmcnt(37)                                        // 000000006378: BF8C8F75
	v_mfma_i32_16x16x32_i8 v[208:211], a[128:129], v[136:137], v[208:211]// 00000000637C: D3D700D0 0F431180
	v_mfma_i32_16x16x32_i8 v[208:211], a[130:131], v[138:139], v[208:211]// 000000006384: D3D700D0 0F431582
	buffer_load_dwordx4 a[32:35], v40, s[12:15], 0 offen       // 00000000638C: E05C1000 80832028
	v_mfma_i32_16x16x32_i8 v[212:215], a[128:129], v[160:161], v[212:215]// 000000006394: D3D700D4 0F534180
	v_mfma_i32_16x16x32_i8 v[212:215], a[130:131], v[162:163], v[212:215]// 00000000639C: D3D700D4 0F534582
	v_mfma_i32_16x16x32_i8 v[216:219], a[132:133], v[136:137], v[216:219]// 0000000063A4: D3D700D8 0F631184
	v_mfma_i32_16x16x32_i8 v[216:219], a[134:135], v[138:139], v[216:219]// 0000000063AC: D3D700D8 0F631586
	buffer_load_dwordx4 a[36:39], v41, s[12:15], 0 offen       // 0000000063B4: E05C1000 80832429
	v_mfma_i32_16x16x32_i8 v[220:223], a[132:133], v[160:161], v[220:223]// 0000000063BC: D3D700DC 0F734184
	v_mfma_i32_16x16x32_i8 v[220:223], a[134:135], v[162:163], v[220:223]// 0000000063C4: D3D700DC 0F734586
	v_mfma_i32_16x16x32_i8 v[224:227], a[136:137], v[136:137], v[224:227]// 0000000063CC: D3D700E0 0F831188
	v_mfma_i32_16x16x32_i8 v[224:227], a[138:139], v[138:139], v[224:227]// 0000000063D4: D3D700E0 0F83158A
	buffer_load_dwordx4 a[40:43], v42, s[12:15], 0 offen       // 0000000063DC: E05C1000 8083282A
	v_mfma_i32_16x16x32_i8 v[228:231], a[136:137], v[160:161], v[228:231]// 0000000063E4: D3D700E4 0F934188
	v_mfma_i32_16x16x32_i8 v[228:231], a[138:139], v[162:163], v[228:231]// 0000000063EC: D3D700E4 0F93458A
	v_mfma_i32_16x16x32_i8 v[232:235], a[140:141], v[136:137], v[232:235]// 0000000063F4: D3D700E8 0FA3118C
	v_mfma_i32_16x16x32_i8 v[232:235], a[142:143], v[138:139], v[232:235]// 0000000063FC: D3D700E8 0FA3158E
	buffer_load_dwordx4 a[44:47], v43, s[12:15], 0 offen       // 000000006404: E05C1000 80832C2B
	s_add_u32 s12, s78, s12                                    // 00000000640C: 800C0C4E
	s_addc_u32 s13, 0, s13                                     // 000000006410: 820D0D80
	v_mfma_i32_16x16x32_i8 v[236:239], a[140:141], v[160:161], v[236:239]// 000000006414: D3D700EC 0FB3418C
	v_mfma_i32_16x16x32_i8 v[236:239], a[142:143], v[162:163], v[236:239]// 00000000641C: D3D700EC 0FB3458E
	s_waitcnt vmcnt(37)                                        // 000000006424: BF8C8F75
	v_mfma_i32_16x16x32_i8 v[208:211], a[144:145], v[140:141], v[208:211]// 000000006428: D3D700D0 0F431990
	v_mfma_i32_16x16x32_i8 v[208:211], a[146:147], v[142:143], v[208:211]// 000000006430: D3D700D0 0F431D92
	buffer_load_dwordx4 a[48:51], v40, s[12:15], 0 offen       // 000000006438: E05C1000 80833028
	v_mfma_i32_16x16x32_i8 v[212:215], a[144:145], v[164:165], v[212:215]// 000000006440: D3D700D4 0F534990
	v_mfma_i32_16x16x32_i8 v[212:215], a[146:147], v[166:167], v[212:215]// 000000006448: D3D700D4 0F534D92
	v_mfma_i32_16x16x32_i8 v[216:219], a[148:149], v[140:141], v[216:219]// 000000006450: D3D700D8 0F631994
	v_mfma_i32_16x16x32_i8 v[216:219], a[150:151], v[142:143], v[216:219]// 000000006458: D3D700D8 0F631D96
	buffer_load_dwordx4 a[52:55], v41, s[12:15], 0 offen       // 000000006460: E05C1000 80833429
	v_mfma_i32_16x16x32_i8 v[220:223], a[148:149], v[164:165], v[220:223]// 000000006468: D3D700DC 0F734994
	v_mfma_i32_16x16x32_i8 v[220:223], a[150:151], v[166:167], v[220:223]// 000000006470: D3D700DC 0F734D96
	v_mfma_i32_16x16x32_i8 v[224:227], a[152:153], v[140:141], v[224:227]// 000000006478: D3D700E0 0F831998
	v_mfma_i32_16x16x32_i8 v[224:227], a[154:155], v[142:143], v[224:227]// 000000006480: D3D700E0 0F831D9A
	buffer_load_dwordx4 a[56:59], v42, s[12:15], 0 offen       // 000000006488: E05C1000 8083382A
	v_mfma_i32_16x16x32_i8 v[228:231], a[152:153], v[164:165], v[228:231]// 000000006490: D3D700E4 0F934998
	v_mfma_i32_16x16x32_i8 v[228:231], a[154:155], v[166:167], v[228:231]// 000000006498: D3D700E4 0F934D9A
	v_mfma_i32_16x16x32_i8 v[232:235], a[156:157], v[140:141], v[232:235]// 0000000064A0: D3D700E8 0FA3199C
	v_mfma_i32_16x16x32_i8 v[232:235], a[158:159], v[142:143], v[232:235]// 0000000064A8: D3D700E8 0FA31D9E
	buffer_load_dwordx4 a[60:63], v43, s[12:15], 0 offen       // 0000000064B0: E05C1000 80833C2B
	s_add_u32 s12, s78, s12                                    // 0000000064B8: 800C0C4E
	s_addc_u32 s13, 0, s13                                     // 0000000064BC: 820D0D80
	v_mfma_i32_16x16x32_i8 v[236:239], a[156:157], v[164:165], v[236:239]// 0000000064C0: D3D700EC 0FB3499C
	v_mfma_i32_16x16x32_i8 v[236:239], a[158:159], v[166:167], v[236:239]// 0000000064C8: D3D700EC 0FB34D9E
	s_waitcnt vmcnt(37)                                        // 0000000064D0: BF8C8F75
	v_mfma_i32_16x16x32_i8 v[208:211], a[160:161], v[144:145], v[208:211]// 0000000064D4: D3D700D0 0F4321A0
	v_mfma_i32_16x16x32_i8 v[208:211], a[162:163], v[146:147], v[208:211]// 0000000064DC: D3D700D0 0F4325A2
	buffer_load_dwordx4 a[64:67], v40, s[12:15], 0 offen       // 0000000064E4: E05C1000 80834028
	v_mfma_i32_16x16x32_i8 v[212:215], a[160:161], v[168:169], v[212:215]// 0000000064EC: D3D700D4 0F5351A0
	v_mfma_i32_16x16x32_i8 v[212:215], a[162:163], v[170:171], v[212:215]// 0000000064F4: D3D700D4 0F5355A2
	v_mfma_i32_16x16x32_i8 v[216:219], a[164:165], v[144:145], v[216:219]// 0000000064FC: D3D700D8 0F6321A4
	v_mfma_i32_16x16x32_i8 v[216:219], a[166:167], v[146:147], v[216:219]// 000000006504: D3D700D8 0F6325A6
	buffer_load_dwordx4 a[68:71], v41, s[12:15], 0 offen       // 00000000650C: E05C1000 80834429
	v_mfma_i32_16x16x32_i8 v[220:223], a[164:165], v[168:169], v[220:223]// 000000006514: D3D700DC 0F7351A4
	v_mfma_i32_16x16x32_i8 v[220:223], a[166:167], v[170:171], v[220:223]// 00000000651C: D3D700DC 0F7355A6
	v_mfma_i32_16x16x32_i8 v[224:227], a[168:169], v[144:145], v[224:227]// 000000006524: D3D700E0 0F8321A8
	v_mfma_i32_16x16x32_i8 v[224:227], a[170:171], v[146:147], v[224:227]// 00000000652C: D3D700E0 0F8325AA
	buffer_load_dwordx4 a[72:75], v42, s[12:15], 0 offen       // 000000006534: E05C1000 8083482A
	v_mfma_i32_16x16x32_i8 v[228:231], a[168:169], v[168:169], v[228:231]// 00000000653C: D3D700E4 0F9351A8
	v_mfma_i32_16x16x32_i8 v[228:231], a[170:171], v[170:171], v[228:231]// 000000006544: D3D700E4 0F9355AA
	v_mfma_i32_16x16x32_i8 v[232:235], a[172:173], v[144:145], v[232:235]// 00000000654C: D3D700E8 0FA321AC
	v_mfma_i32_16x16x32_i8 v[232:235], a[174:175], v[146:147], v[232:235]// 000000006554: D3D700E8 0FA325AE
	buffer_load_dwordx4 a[76:79], v43, s[12:15], 0 offen       // 00000000655C: E05C1000 80834C2B
	s_add_u32 s12, s78, s12                                    // 000000006564: 800C0C4E
	s_addc_u32 s13, 0, s13                                     // 000000006568: 820D0D80
	v_mfma_i32_16x16x32_i8 v[236:239], a[172:173], v[168:169], v[236:239]// 00000000656C: D3D700EC 0FB351AC
	v_mfma_i32_16x16x32_i8 v[236:239], a[174:175], v[170:171], v[236:239]// 000000006574: D3D700EC 0FB355AE
	s_waitcnt vmcnt(36)                                        // 00000000657C: BF8C8F74
	v_mfma_i32_16x16x32_i8 v[208:211], a[176:177], v[148:149], v[208:211]// 000000006580: D3D700D0 0F4329B0
	v_mfma_i32_16x16x32_i8 v[208:211], a[178:179], v[150:151], v[208:211]// 000000006588: D3D700D0 0F432DB2
	buffer_load_dwordx4 a[80:83], v40, s[12:15], 0 offen       // 000000006590: E05C1000 80835028
	v_mfma_i32_16x16x32_i8 v[212:215], a[176:177], v[172:173], v[212:215]// 000000006598: D3D700D4 0F5359B0
	v_mfma_i32_16x16x32_i8 v[212:215], a[178:179], v[174:175], v[212:215]// 0000000065A0: D3D700D4 0F535DB2
	buffer_load_dword v12, v5, s[16:19], 0 offen               // 0000000065A8: E0501000 80040C05
	v_mfma_i32_16x16x32_i8 v[216:219], a[180:181], v[148:149], v[216:219]// 0000000065B0: D3D700D8 0F6329B4
	v_mfma_i32_16x16x32_i8 v[216:219], a[182:183], v[150:151], v[216:219]// 0000000065B8: D3D700D8 0F632DB6
	buffer_load_dwordx4 a[84:87], v41, s[12:15], 0 offen       // 0000000065C0: E05C1000 80835429
	v_mfma_i32_16x16x32_i8 v[220:223], a[180:181], v[172:173], v[220:223]// 0000000065C8: D3D700DC 0F7359B4
	v_mfma_i32_16x16x32_i8 v[220:223], a[182:183], v[174:175], v[220:223]// 0000000065D0: D3D700DC 0F735DB6
	v_mfma_i32_16x16x32_i8 v[224:227], a[184:185], v[148:149], v[224:227]// 0000000065D8: D3D700E0 0F8329B8
	v_mfma_i32_16x16x32_i8 v[224:227], a[186:187], v[150:151], v[224:227]// 0000000065E0: D3D700E0 0F832DBA
	buffer_load_dwordx4 a[88:91], v42, s[12:15], 0 offen       // 0000000065E8: E05C1000 8083582A
	v_mfma_i32_16x16x32_i8 v[228:231], a[184:185], v[172:173], v[228:231]// 0000000065F0: D3D700E4 0F9359B8
	v_mfma_i32_16x16x32_i8 v[228:231], a[186:187], v[174:175], v[228:231]// 0000000065F8: D3D700E4 0F935DBA
	v_mfma_i32_16x16x32_i8 v[232:235], a[188:189], v[148:149], v[232:235]// 000000006600: D3D700E8 0FA329BC
	v_mfma_i32_16x16x32_i8 v[232:235], a[190:191], v[150:151], v[232:235]// 000000006608: D3D700E8 0FA32DBE
	buffer_load_dwordx4 a[92:95], v43, s[12:15], 0 offen       // 000000006610: E05C1000 80835C2B
	v_mfma_i32_16x16x32_i8 v[236:239], a[188:189], v[172:173], v[236:239]// 000000006618: D3D700EC 0FB359BC
	v_mfma_i32_16x16x32_i8 v[236:239], a[190:191], v[174:175], v[236:239]// 000000006620: D3D700EC 0FB35DBE
	s_add_u32 s60, 0x200, s80                                  // 000000006628: 803C50FF 00000200
	s_cmp_lt_u32 s60, s81                                      // 000000006630: BF0A513C
	s_cselect_b32 s56, s56, 0                                  // 000000006634: 85388038
	s_cselect_b32 s78, s78, 0                                  // 000000006638: 854E804E
	s_cselect_b32 s79, s79, 0                                  // 00000000663C: 854F804F
	s_add_u32 s12, s56, s12                                    // 000000006640: 800C0C38
	s_addc_u32 s13, 0, s13                                     // 000000006644: 820D0D80
	s_add_u32 s16, s79, s16                                    // 000000006648: 8010104F
	s_addc_u32 s17, 0, s17                                     // 00000000664C: 82111180
	v_cvt_f32_i32_e32 v208, v208                               // 000000006650: 7FA00BD0
	v_cvt_f32_i32_e32 v209, v209                               // 000000006654: 7FA20BD1
	v_cvt_f32_i32_e32 v210, v210                               // 000000006658: 7FA40BD2
	v_cvt_f32_i32_e32 v211, v211                               // 00000000665C: 7FA60BD3
	v_mul_f32_e32 v208, v24, v208                              // 000000006660: 0BA1A118
	v_mul_f32_e32 v209, v24, v209                              // 000000006664: 0BA3A318
	v_mul_f32_e32 v210, v24, v210                              // 000000006668: 0BA5A518
	v_mul_f32_e32 v211, v24, v211                              // 00000000666C: 0BA7A718
	v_mul_f32_dpp v208, v13, v208 row_newbcast:0 row_mask:0xf bank_mask:0xf// 000000006670: 0BA1A0FA FF01500D
	v_mul_f32_dpp v209, v13, v209 row_newbcast:1 row_mask:0xf bank_mask:0xf// 000000006678: 0BA3A2FA FF01510D
	v_mul_f32_dpp v210, v13, v210 row_newbcast:2 row_mask:0xf bank_mask:0xf// 000000006680: 0BA5A4FA FF01520D
	v_mul_f32_dpp v211, v13, v211 row_newbcast:3 row_mask:0xf bank_mask:0xf// 000000006688: 0BA7A6FA FF01530D
	v_mul_f32_e32 v208, v20, v208                              // 000000006690: 0BA1A114
	v_mul_f32_e32 v209, v20, v209                              // 000000006694: 0BA3A314
	v_mul_f32_e32 v210, v20, v210                              // 000000006698: 0BA5A514
	v_mul_f32_e32 v211, v20, v211                              // 00000000669C: 0BA7A714
	v_cvt_f32_i32_e32 v212, v212                               // 0000000066A0: 7FA80BD4
	v_cvt_f32_i32_e32 v213, v213                               // 0000000066A4: 7FAA0BD5
	v_cvt_f32_i32_e32 v214, v214                               // 0000000066A8: 7FAC0BD6
	v_cvt_f32_i32_e32 v215, v215                               // 0000000066AC: 7FAE0BD7
	v_mul_f32_e32 v212, v25, v212                              // 0000000066B0: 0BA9A919
	v_mul_f32_e32 v213, v25, v213                              // 0000000066B4: 0BABAB19
	v_mul_f32_e32 v214, v25, v214                              // 0000000066B8: 0BADAD19
	v_mul_f32_e32 v215, v25, v215                              // 0000000066BC: 0BAFAF19
	v_mul_f32_dpp v212, v13, v212 row_newbcast:0 row_mask:0xf bank_mask:0xf// 0000000066C0: 0BA9A8FA FF01500D
	v_mul_f32_dpp v213, v13, v213 row_newbcast:1 row_mask:0xf bank_mask:0xf// 0000000066C8: 0BABAAFA FF01510D
	v_mul_f32_dpp v214, v13, v214 row_newbcast:2 row_mask:0xf bank_mask:0xf// 0000000066D0: 0BADACFA FF01520D
	v_mul_f32_dpp v215, v13, v215 row_newbcast:3 row_mask:0xf bank_mask:0xf// 0000000066D8: 0BAFAEFA FF01530D
	v_mul_f32_e32 v212, v21, v212                              // 0000000066E0: 0BA9A915
	v_mul_f32_e32 v213, v21, v213                              // 0000000066E4: 0BABAB15
	v_mul_f32_e32 v214, v21, v214                              // 0000000066E8: 0BADAD15
	v_mul_f32_e32 v215, v21, v215                              // 0000000066EC: 0BAFAF15
	v_cvt_f32_i32_e32 v216, v216                               // 0000000066F0: 7FB00BD8
	v_cvt_f32_i32_e32 v217, v217                               // 0000000066F4: 7FB20BD9
	v_cvt_f32_i32_e32 v218, v218                               // 0000000066F8: 7FB40BDA
	v_cvt_f32_i32_e32 v219, v219                               // 0000000066FC: 7FB60BDB
	v_mul_f32_e32 v216, v24, v216                              // 000000006700: 0BB1B118
	v_mul_f32_e32 v217, v24, v217                              // 000000006704: 0BB3B318
	v_mul_f32_e32 v218, v24, v218                              // 000000006708: 0BB5B518
	v_mul_f32_e32 v219, v24, v219                              // 00000000670C: 0BB7B718
	v_mul_f32_dpp v216, v13, v216 row_newbcast:4 row_mask:0xf bank_mask:0xf// 000000006710: 0BB1B0FA FF01540D
	v_mul_f32_dpp v217, v13, v217 row_newbcast:5 row_mask:0xf bank_mask:0xf// 000000006718: 0BB3B2FA FF01550D
	v_mul_f32_dpp v218, v13, v218 row_newbcast:6 row_mask:0xf bank_mask:0xf// 000000006720: 0BB5B4FA FF01560D
	v_mul_f32_dpp v219, v13, v219 row_newbcast:7 row_mask:0xf bank_mask:0xf// 000000006728: 0BB7B6FA FF01570D
	v_mul_f32_e32 v216, v20, v216                              // 000000006730: 0BB1B114
	v_mul_f32_e32 v217, v20, v217                              // 000000006734: 0BB3B314
	v_mul_f32_e32 v218, v20, v218                              // 000000006738: 0BB5B514
	v_mul_f32_e32 v219, v20, v219                              // 00000000673C: 0BB7B714
	v_cvt_f32_i32_e32 v220, v220                               // 000000006740: 7FB80BDC
	v_cvt_f32_i32_e32 v221, v221                               // 000000006744: 7FBA0BDD
	v_cvt_f32_i32_e32 v222, v222                               // 000000006748: 7FBC0BDE
	v_cvt_f32_i32_e32 v223, v223                               // 00000000674C: 7FBE0BDF
	v_mul_f32_e32 v220, v25, v220                              // 000000006750: 0BB9B919
	v_mul_f32_e32 v221, v25, v221                              // 000000006754: 0BBBBB19
	v_mul_f32_e32 v222, v25, v222                              // 000000006758: 0BBDBD19
	v_mul_f32_e32 v223, v25, v223                              // 00000000675C: 0BBFBF19
	v_mul_f32_dpp v220, v13, v220 row_newbcast:4 row_mask:0xf bank_mask:0xf// 000000006760: 0BB9B8FA FF01540D
	v_mul_f32_dpp v221, v13, v221 row_newbcast:5 row_mask:0xf bank_mask:0xf// 000000006768: 0BBBBAFA FF01550D
	v_mul_f32_dpp v222, v13, v222 row_newbcast:6 row_mask:0xf bank_mask:0xf// 000000006770: 0BBDBCFA FF01560D
	v_mul_f32_dpp v223, v13, v223 row_newbcast:7 row_mask:0xf bank_mask:0xf// 000000006778: 0BBFBEFA FF01570D
	v_mul_f32_e32 v220, v21, v220                              // 000000006780: 0BB9B915
	v_mul_f32_e32 v221, v21, v221                              // 000000006784: 0BBBBB15
	v_mul_f32_e32 v222, v21, v222                              // 000000006788: 0BBDBD15
	v_mul_f32_e32 v223, v21, v223                              // 00000000678C: 0BBFBF15
	v_cvt_f32_i32_e32 v224, v224                               // 000000006790: 7FC00BE0
	v_cvt_f32_i32_e32 v225, v225                               // 000000006794: 7FC20BE1
	v_cvt_f32_i32_e32 v226, v226                               // 000000006798: 7FC40BE2
	v_cvt_f32_i32_e32 v227, v227                               // 00000000679C: 7FC60BE3
	v_mul_f32_e32 v224, v24, v224                              // 0000000067A0: 0BC1C118
	v_mul_f32_e32 v225, v24, v225                              // 0000000067A4: 0BC3C318
	v_mul_f32_e32 v226, v24, v226                              // 0000000067A8: 0BC5C518
	v_mul_f32_e32 v227, v24, v227                              // 0000000067AC: 0BC7C718
	v_mul_f32_dpp v224, v13, v224 row_newbcast:8 row_mask:0xf bank_mask:0xf// 0000000067B0: 0BC1C0FA FF01580D
	v_mul_f32_dpp v225, v13, v225 row_newbcast:9 row_mask:0xf bank_mask:0xf// 0000000067B8: 0BC3C2FA FF01590D
	v_mul_f32_dpp v226, v13, v226 row_newbcast:10 row_mask:0xf bank_mask:0xf// 0000000067C0: 0BC5C4FA FF015A0D
	v_mul_f32_dpp v227, v13, v227 row_newbcast:11 row_mask:0xf bank_mask:0xf// 0000000067C8: 0BC7C6FA FF015B0D
	v_mul_f32_e32 v224, v20, v224                              // 0000000067D0: 0BC1C114
	v_mul_f32_e32 v225, v20, v225                              // 0000000067D4: 0BC3C314
	v_mul_f32_e32 v226, v20, v226                              // 0000000067D8: 0BC5C514
	v_mul_f32_e32 v227, v20, v227                              // 0000000067DC: 0BC7C714
	v_cvt_f32_i32_e32 v228, v228                               // 0000000067E0: 7FC80BE4
	v_cvt_f32_i32_e32 v229, v229                               // 0000000067E4: 7FCA0BE5
	v_cvt_f32_i32_e32 v230, v230                               // 0000000067E8: 7FCC0BE6
	v_cvt_f32_i32_e32 v231, v231                               // 0000000067EC: 7FCE0BE7
	v_mul_f32_e32 v228, v25, v228                              // 0000000067F0: 0BC9C919
	v_mul_f32_e32 v229, v25, v229                              // 0000000067F4: 0BCBCB19
	v_mul_f32_e32 v230, v25, v230                              // 0000000067F8: 0BCDCD19
	v_mul_f32_e32 v231, v25, v231                              // 0000000067FC: 0BCFCF19
	v_mul_f32_dpp v228, v13, v228 row_newbcast:8 row_mask:0xf bank_mask:0xf// 000000006800: 0BC9C8FA FF01580D
	v_mul_f32_dpp v229, v13, v229 row_newbcast:9 row_mask:0xf bank_mask:0xf// 000000006808: 0BCBCAFA FF01590D
	v_mul_f32_dpp v230, v13, v230 row_newbcast:10 row_mask:0xf bank_mask:0xf// 000000006810: 0BCDCCFA FF015A0D
	v_mul_f32_dpp v231, v13, v231 row_newbcast:11 row_mask:0xf bank_mask:0xf// 000000006818: 0BCFCEFA FF015B0D
	v_mul_f32_e32 v228, v21, v228                              // 000000006820: 0BC9C915
	v_mul_f32_e32 v229, v21, v229                              // 000000006824: 0BCBCB15
	v_mul_f32_e32 v230, v21, v230                              // 000000006828: 0BCDCD15
	v_mul_f32_e32 v231, v21, v231                              // 00000000682C: 0BCFCF15
	v_cvt_f32_i32_e32 v232, v232                               // 000000006830: 7FD00BE8
	v_cvt_f32_i32_e32 v233, v233                               // 000000006834: 7FD20BE9
	v_cvt_f32_i32_e32 v234, v234                               // 000000006838: 7FD40BEA
	v_cvt_f32_i32_e32 v235, v235                               // 00000000683C: 7FD60BEB
	v_mul_f32_e32 v232, v24, v232                              // 000000006840: 0BD1D118
	v_mul_f32_e32 v233, v24, v233                              // 000000006844: 0BD3D318
	v_mul_f32_e32 v234, v24, v234                              // 000000006848: 0BD5D518
	v_mul_f32_e32 v235, v24, v235                              // 00000000684C: 0BD7D718
	v_mul_f32_dpp v232, v13, v232 row_newbcast:12 row_mask:0xf bank_mask:0xf// 000000006850: 0BD1D0FA FF015C0D
	v_mul_f32_dpp v233, v13, v233 row_newbcast:13 row_mask:0xf bank_mask:0xf// 000000006858: 0BD3D2FA FF015D0D
	v_mul_f32_dpp v234, v13, v234 row_newbcast:14 row_mask:0xf bank_mask:0xf// 000000006860: 0BD5D4FA FF015E0D
	v_mul_f32_dpp v235, v13, v235 row_newbcast:15 row_mask:0xf bank_mask:0xf// 000000006868: 0BD7D6FA FF015F0D
	v_mul_f32_e32 v232, v20, v232                              // 000000006870: 0BD1D114
	v_mul_f32_e32 v233, v20, v233                              // 000000006874: 0BD3D314
	v_mul_f32_e32 v234, v20, v234                              // 000000006878: 0BD5D514
	v_mul_f32_e32 v235, v20, v235                              // 00000000687C: 0BD7D714
	v_cvt_f32_i32_e32 v236, v236                               // 000000006880: 7FD80BEC
	v_cvt_f32_i32_e32 v237, v237                               // 000000006884: 7FDA0BED
	v_cvt_f32_i32_e32 v238, v238                               // 000000006888: 7FDC0BEE
	v_cvt_f32_i32_e32 v239, v239                               // 00000000688C: 7FDE0BEF
	v_mul_f32_e32 v236, v25, v236                              // 000000006890: 0BD9D919
	v_mul_f32_e32 v237, v25, v237                              // 000000006894: 0BDBDB19
	v_mul_f32_e32 v238, v25, v238                              // 000000006898: 0BDDDD19
	v_mul_f32_e32 v239, v25, v239                              // 00000000689C: 0BDFDF19
	v_mul_f32_dpp v236, v13, v236 row_newbcast:12 row_mask:0xf bank_mask:0xf// 0000000068A0: 0BD9D8FA FF015C0D
	v_mul_f32_dpp v237, v13, v237 row_newbcast:13 row_mask:0xf bank_mask:0xf// 0000000068A8: 0BDBDAFA FF015D0D
	v_mul_f32_dpp v238, v13, v238 row_newbcast:14 row_mask:0xf bank_mask:0xf// 0000000068B0: 0BDDDCFA FF015E0D
	v_mul_f32_dpp v239, v13, v239 row_newbcast:15 row_mask:0xf bank_mask:0xf// 0000000068B8: 0BDFDEFA FF015F0D
	v_mul_f32_e32 v236, v21, v236                              // 0000000068C0: 0BD9D915
	v_mul_f32_e32 v237, v21, v237                              // 0000000068C4: 0BDBDB15
	v_mul_f32_e32 v238, v21, v238                              // 0000000068C8: 0BDDDD15
	v_mul_f32_e32 v239, v21, v239                              // 0000000068CC: 0BDFDF15
	v_cmp_u_f32_e64 s[48:49], v208, v208                       // 0000000068D0: D0480030 0003A1D0
	v_add3_u32 v44, v208, v47, 1                               // 0000000068D8: D1FF002C 02065FD0
	v_cndmask_b32_e64 v48, v44, v46, s[48:49]                  // 0000000068E0: D1000030 00C25D2C
	v_cmp_u_f32_e64 s[48:49], v209, v209                       // 0000000068E8: D0480030 0003A3D1
	v_add3_u32 v44, v209, v47, 1                               // 0000000068F0: D1FF002C 02065FD1
	v_cndmask_b32_e64 v49, v44, v46, s[48:49]                  // 0000000068F8: D1000031 00C25D2C
	v_perm_b32 v208, v49, v48, s52                             // 000000006900: D1ED00D0 00D26131
	v_cmp_u_f32_e64 s[48:49], v210, v210                       // 000000006908: D0480030 0003A5D2
	v_add3_u32 v44, v210, v47, 1                               // 000000006910: D1FF002C 02065FD2
	v_cndmask_b32_e64 v48, v44, v46, s[48:49]                  // 000000006918: D1000030 00C25D2C
	v_cmp_u_f32_e64 s[48:49], v211, v211                       // 000000006920: D0480030 0003A7D3
	v_add3_u32 v44, v211, v47, 1                               // 000000006928: D1FF002C 02065FD3
	v_cndmask_b32_e64 v49, v44, v46, s[48:49]                  // 000000006930: D1000031 00C25D2C
	v_perm_b32 v209, v49, v48, s52                             // 000000006938: D1ED00D1 00D26131
	v_cmp_u_f32_e64 s[48:49], v212, v212                       // 000000006940: D0480030 0003A9D4
	v_add3_u32 v44, v212, v47, 1                               // 000000006948: D1FF002C 02065FD4
	v_cndmask_b32_e64 v48, v44, v46, s[48:49]                  // 000000006950: D1000030 00C25D2C
	v_cmp_u_f32_e64 s[48:49], v213, v213                       // 000000006958: D0480030 0003ABD5
	v_add3_u32 v44, v213, v47, 1                               // 000000006960: D1FF002C 02065FD5
	v_cndmask_b32_e64 v49, v44, v46, s[48:49]                  // 000000006968: D1000031 00C25D2C
	v_perm_b32 v210, v49, v48, s52                             // 000000006970: D1ED00D2 00D26131
	v_cmp_u_f32_e64 s[48:49], v214, v214                       // 000000006978: D0480030 0003ADD6
	v_add3_u32 v44, v214, v47, 1                               // 000000006980: D1FF002C 02065FD6
	v_cndmask_b32_e64 v48, v44, v46, s[48:49]                  // 000000006988: D1000030 00C25D2C
	v_cmp_u_f32_e64 s[48:49], v215, v215                       // 000000006990: D0480030 0003AFD7
	v_add3_u32 v44, v215, v47, 1                               // 000000006998: D1FF002C 02065FD7
	v_cndmask_b32_e64 v49, v44, v46, s[48:49]                  // 0000000069A0: D1000031 00C25D2C
	v_perm_b32 v211, v49, v48, s52                             // 0000000069A8: D1ED00D3 00D26131
	v_cmp_u_f32_e64 s[48:49], v216, v216                       // 0000000069B0: D0480030 0003B1D8
	v_add3_u32 v44, v216, v47, 1                               // 0000000069B8: D1FF002C 02065FD8
	v_cndmask_b32_e64 v48, v44, v46, s[48:49]                  // 0000000069C0: D1000030 00C25D2C
	v_cmp_u_f32_e64 s[48:49], v217, v217                       // 0000000069C8: D0480030 0003B3D9
	v_add3_u32 v44, v217, v47, 1                               // 0000000069D0: D1FF002C 02065FD9
	v_cndmask_b32_e64 v49, v44, v46, s[48:49]                  // 0000000069D8: D1000031 00C25D2C
	v_perm_b32 v212, v49, v48, s52                             // 0000000069E0: D1ED00D4 00D26131
	v_cmp_u_f32_e64 s[48:49], v218, v218                       // 0000000069E8: D0480030 0003B5DA
	v_add3_u32 v44, v218, v47, 1                               // 0000000069F0: D1FF002C 02065FDA
	v_cndmask_b32_e64 v48, v44, v46, s[48:49]                  // 0000000069F8: D1000030 00C25D2C
	v_cmp_u_f32_e64 s[48:49], v219, v219                       // 000000006A00: D0480030 0003B7DB
	v_add3_u32 v44, v219, v47, 1                               // 000000006A08: D1FF002C 02065FDB
	v_cndmask_b32_e64 v49, v44, v46, s[48:49]                  // 000000006A10: D1000031 00C25D2C
	v_perm_b32 v213, v49, v48, s52                             // 000000006A18: D1ED00D5 00D26131
	v_cmp_u_f32_e64 s[48:49], v220, v220                       // 000000006A20: D0480030 0003B9DC
	v_add3_u32 v44, v220, v47, 1                               // 000000006A28: D1FF002C 02065FDC
	v_cndmask_b32_e64 v48, v44, v46, s[48:49]                  // 000000006A30: D1000030 00C25D2C
	v_cmp_u_f32_e64 s[48:49], v221, v221                       // 000000006A38: D0480030 0003BBDD
	v_add3_u32 v44, v221, v47, 1                               // 000000006A40: D1FF002C 02065FDD
	v_cndmask_b32_e64 v49, v44, v46, s[48:49]                  // 000000006A48: D1000031 00C25D2C
	v_perm_b32 v214, v49, v48, s52                             // 000000006A50: D1ED00D6 00D26131
	v_cmp_u_f32_e64 s[48:49], v222, v222                       // 000000006A58: D0480030 0003BDDE
	v_add3_u32 v44, v222, v47, 1                               // 000000006A60: D1FF002C 02065FDE
	v_cndmask_b32_e64 v48, v44, v46, s[48:49]                  // 000000006A68: D1000030 00C25D2C
	v_cmp_u_f32_e64 s[48:49], v223, v223                       // 000000006A70: D0480030 0003BFDF
	v_add3_u32 v44, v223, v47, 1                               // 000000006A78: D1FF002C 02065FDF
	v_cndmask_b32_e64 v49, v44, v46, s[48:49]                  // 000000006A80: D1000031 00C25D2C
	v_perm_b32 v215, v49, v48, s52                             // 000000006A88: D1ED00D7 00D26131
	v_cmp_u_f32_e64 s[48:49], v224, v224                       // 000000006A90: D0480030 0003C1E0
	v_add3_u32 v44, v224, v47, 1                               // 000000006A98: D1FF002C 02065FE0
	v_cndmask_b32_e64 v48, v44, v46, s[48:49]                  // 000000006AA0: D1000030 00C25D2C
	v_cmp_u_f32_e64 s[48:49], v225, v225                       // 000000006AA8: D0480030 0003C3E1
	v_add3_u32 v44, v225, v47, 1                               // 000000006AB0: D1FF002C 02065FE1
	v_cndmask_b32_e64 v49, v44, v46, s[48:49]                  // 000000006AB8: D1000031 00C25D2C
	v_perm_b32 v216, v49, v48, s52                             // 000000006AC0: D1ED00D8 00D26131
	v_cmp_u_f32_e64 s[48:49], v226, v226                       // 000000006AC8: D0480030 0003C5E2
	v_add3_u32 v44, v226, v47, 1                               // 000000006AD0: D1FF002C 02065FE2
	v_cndmask_b32_e64 v48, v44, v46, s[48:49]                  // 000000006AD8: D1000030 00C25D2C
	v_cmp_u_f32_e64 s[48:49], v227, v227                       // 000000006AE0: D0480030 0003C7E3
	v_add3_u32 v44, v227, v47, 1                               // 000000006AE8: D1FF002C 02065FE3
	v_cndmask_b32_e64 v49, v44, v46, s[48:49]                  // 000000006AF0: D1000031 00C25D2C
	v_perm_b32 v217, v49, v48, s52                             // 000000006AF8: D1ED00D9 00D26131
	v_cmp_u_f32_e64 s[48:49], v228, v228                       // 000000006B00: D0480030 0003C9E4
	v_add3_u32 v44, v228, v47, 1                               // 000000006B08: D1FF002C 02065FE4
	v_cndmask_b32_e64 v48, v44, v46, s[48:49]                  // 000000006B10: D1000030 00C25D2C
	v_cmp_u_f32_e64 s[48:49], v229, v229                       // 000000006B18: D0480030 0003CBE5
	v_add3_u32 v44, v229, v47, 1                               // 000000006B20: D1FF002C 02065FE5
	v_cndmask_b32_e64 v49, v44, v46, s[48:49]                  // 000000006B28: D1000031 00C25D2C
	v_perm_b32 v218, v49, v48, s52                             // 000000006B30: D1ED00DA 00D26131
	v_cmp_u_f32_e64 s[48:49], v230, v230                       // 000000006B38: D0480030 0003CDE6
	v_add3_u32 v44, v230, v47, 1                               // 000000006B40: D1FF002C 02065FE6
	v_cndmask_b32_e64 v48, v44, v46, s[48:49]                  // 000000006B48: D1000030 00C25D2C
	v_cmp_u_f32_e64 s[48:49], v231, v231                       // 000000006B50: D0480030 0003CFE7
	v_add3_u32 v44, v231, v47, 1                               // 000000006B58: D1FF002C 02065FE7
	v_cndmask_b32_e64 v49, v44, v46, s[48:49]                  // 000000006B60: D1000031 00C25D2C
	v_perm_b32 v219, v49, v48, s52                             // 000000006B68: D1ED00DB 00D26131
	v_cmp_u_f32_e64 s[48:49], v232, v232                       // 000000006B70: D0480030 0003D1E8
	v_add3_u32 v44, v232, v47, 1                               // 000000006B78: D1FF002C 02065FE8
	v_cndmask_b32_e64 v48, v44, v46, s[48:49]                  // 000000006B80: D1000030 00C25D2C
	v_cmp_u_f32_e64 s[48:49], v233, v233                       // 000000006B88: D0480030 0003D3E9
	v_add3_u32 v44, v233, v47, 1                               // 000000006B90: D1FF002C 02065FE9
	v_cndmask_b32_e64 v49, v44, v46, s[48:49]                  // 000000006B98: D1000031 00C25D2C
	v_perm_b32 v220, v49, v48, s52                             // 000000006BA0: D1ED00DC 00D26131
	v_cmp_u_f32_e64 s[48:49], v234, v234                       // 000000006BA8: D0480030 0003D5EA
	v_add3_u32 v44, v234, v47, 1                               // 000000006BB0: D1FF002C 02065FEA
	v_cndmask_b32_e64 v48, v44, v46, s[48:49]                  // 000000006BB8: D1000030 00C25D2C
	v_cmp_u_f32_e64 s[48:49], v235, v235                       // 000000006BC0: D0480030 0003D7EB
	v_add3_u32 v44, v235, v47, 1                               // 000000006BC8: D1FF002C 02065FEB
	v_cndmask_b32_e64 v49, v44, v46, s[48:49]                  // 000000006BD0: D1000031 00C25D2C
	v_perm_b32 v221, v49, v48, s52                             // 000000006BD8: D1ED00DD 00D26131
	v_cmp_u_f32_e64 s[48:49], v236, v236                       // 000000006BE0: D0480030 0003D9EC
	v_add3_u32 v44, v236, v47, 1                               // 000000006BE8: D1FF002C 02065FEC
	v_cndmask_b32_e64 v48, v44, v46, s[48:49]                  // 000000006BF0: D1000030 00C25D2C
	v_cmp_u_f32_e64 s[48:49], v237, v237                       // 000000006BF8: D0480030 0003DBED
	v_add3_u32 v44, v237, v47, 1                               // 000000006C00: D1FF002C 02065FED
	v_cndmask_b32_e64 v49, v44, v46, s[48:49]                  // 000000006C08: D1000031 00C25D2C
	v_perm_b32 v222, v49, v48, s52                             // 000000006C10: D1ED00DE 00D26131
	v_cmp_u_f32_e64 s[48:49], v238, v238                       // 000000006C18: D0480030 0003DDEE
	v_add3_u32 v44, v238, v47, 1                               // 000000006C20: D1FF002C 02065FEE
	v_cndmask_b32_e64 v48, v44, v46, s[48:49]                  // 000000006C28: D1000030 00C25D2C
	v_cmp_u_f32_e64 s[48:49], v239, v239                       // 000000006C30: D0480030 0003DFEF
	v_add3_u32 v44, v239, v47, 1                               // 000000006C38: D1FF002C 02065FEF
	v_cndmask_b32_e64 v49, v44, v46, s[48:49]                  // 000000006C40: D1000031 00C25D2C
	v_perm_b32 v223, v49, v48, s52                             // 000000006C48: D1ED00DF 00D26131
	ds_write_b64 v3, v[208:209] offset:30976                   // 000000006C50: D89A7900 0000D003
	ds_write_b64 v3, v[210:211] offset:39680                   // 000000006C58: D89A9B00 0000D203
	ds_write_b64 v3, v[212:213] offset:33152                   // 000000006C60: D89A8180 0000D403
	ds_write_b64 v3, v[214:215] offset:41856                   // 000000006C68: D89AA380 0000D603
	ds_write_b64 v3, v[216:217] offset:35328                   // 000000006C70: D89A8A00 0000D803
	ds_write_b64 v3, v[218:219] offset:44032                   // 000000006C78: D89AAC00 0000DA03
	ds_write_b64 v3, v[220:221] offset:37504                   // 000000006C80: D89A9280 0000DC03
	ds_write_b64 v3, v[222:223] offset:46208                   // 000000006C88: D89AB480 0000DE03
	s_waitcnt lgkmcnt(0)                                       // 000000006C90: BF8CC07F
	s_barrier                                                  // 000000006C94: BF8A0000
	ds_read_b32 v64, v4 offset:30976                           // 000000006C98: D86C7900 40000004
	ds_read_b32 v65, v4 offset:35328                           // 000000006CA0: D86C8A00 41000004
	ds_read_b32 v66, v4 offset:31008                           // 000000006CA8: D86C7920 42000004
	ds_read_b32 v67, v4 offset:35360                           // 000000006CB0: D86C8A20 43000004
	ds_read_b32 v68, v4 offset:31040                           // 000000006CB8: D86C7940 44000004
	ds_read_b32 v69, v4 offset:35392                           // 000000006CC0: D86C8A40 45000004
	ds_read_b32 v70, v4 offset:31072                           // 000000006CC8: D86C7960 46000004
	ds_read_b32 v71, v4 offset:35424                           // 000000006CD0: D86C8A60 47000004
	ds_read_b32 v72, v4 offset:39680                           // 000000006CD8: D86C9B00 48000004
	ds_read_b32 v73, v4 offset:44032                           // 000000006CE0: D86CAC00 49000004
	ds_read_b32 v74, v4 offset:39712                           // 000000006CE8: D86C9B20 4A000004
	ds_read_b32 v75, v4 offset:44064                           // 000000006CF0: D86CAC20 4B000004
	ds_read_b32 v76, v4 offset:39744                           // 000000006CF8: D86C9B40 4C000004
	ds_read_b32 v77, v4 offset:44096                           // 000000006D00: D86CAC40 4D000004
	ds_read_b32 v78, v4 offset:39776                           // 000000006D08: D86C9B60 4E000004
	ds_read_b32 v79, v4 offset:44128                           // 000000006D10: D86CAC60 4F000004
	s_waitcnt lgkmcnt(0)                                       // 000000006D18: BF8CC07F
	s_mov_b64 exec, s[20:21]                                   // 000000006D1C: BEFE0114
	global_atomic_pk_add_f16 v80, v64, s[8:9]                  // 000000006D20: DD388000 00084050
	s_mov_b64 exec, s[36:37]                                   // 000000006D28: BEFE0124
	s_mov_b64 exec, s[20:21]                                   // 000000006D2C: BEFE0114
	global_atomic_pk_add_f16 v80, v65, s[8:9] offset:256       // 000000006D30: DD388100 00084150
	s_mov_b64 exec, s[36:37]                                   // 000000006D38: BEFE0124
	s_mov_b64 exec, s[22:23]                                   // 000000006D3C: BEFE0116
	global_atomic_pk_add_f16 v82, v66, s[8:9]                  // 000000006D40: DD388000 00084252
	s_mov_b64 exec, s[36:37]                                   // 000000006D48: BEFE0124
	s_mov_b64 exec, s[22:23]                                   // 000000006D4C: BEFE0116
	global_atomic_pk_add_f16 v82, v67, s[8:9] offset:256       // 000000006D50: DD388100 00084352
	s_mov_b64 exec, s[36:37]                                   // 000000006D58: BEFE0124
	s_mov_b64 exec, s[24:25]                                   // 000000006D5C: BEFE0118
	global_atomic_pk_add_f16 v84, v68, s[8:9]                  // 000000006D60: DD388000 00084454
	s_mov_b64 exec, s[36:37]                                   // 000000006D68: BEFE0124
	s_mov_b64 exec, s[24:25]                                   // 000000006D6C: BEFE0118
	global_atomic_pk_add_f16 v84, v69, s[8:9] offset:256       // 000000006D70: DD388100 00084554
	s_mov_b64 exec, s[36:37]                                   // 000000006D78: BEFE0124
	s_mov_b64 exec, s[26:27]                                   // 000000006D7C: BEFE011A
	global_atomic_pk_add_f16 v86, v70, s[8:9]                  // 000000006D80: DD388000 00084656
	s_mov_b64 exec, s[36:37]                                   // 000000006D88: BEFE0124
	s_mov_b64 exec, s[26:27]                                   // 000000006D8C: BEFE011A
	global_atomic_pk_add_f16 v86, v71, s[8:9] offset:256       // 000000006D90: DD388100 00084756
	s_mov_b64 exec, s[36:37]                                   // 000000006D98: BEFE0124
	s_mov_b64 exec, s[28:29]                                   // 000000006D9C: BEFE011C
	global_atomic_pk_add_f16 v88, v72, s[8:9]                  // 000000006DA0: DD388000 00084858
	s_mov_b64 exec, s[36:37]                                   // 000000006DA8: BEFE0124
	s_mov_b64 exec, s[28:29]                                   // 000000006DAC: BEFE011C
	global_atomic_pk_add_f16 v88, v73, s[8:9] offset:256       // 000000006DB0: DD388100 00084958
	s_mov_b64 exec, s[36:37]                                   // 000000006DB8: BEFE0124
	s_mov_b64 exec, s[30:31]                                   // 000000006DBC: BEFE011E
	global_atomic_pk_add_f16 v90, v74, s[8:9]                  // 000000006DC0: DD388000 00084A5A
	s_mov_b64 exec, s[36:37]                                   // 000000006DC8: BEFE0124
	s_mov_b64 exec, s[30:31]                                   // 000000006DCC: BEFE011E
	global_atomic_pk_add_f16 v90, v75, s[8:9] offset:256       // 000000006DD0: DD388100 00084B5A
	s_mov_b64 exec, s[36:37]                                   // 000000006DD8: BEFE0124
	s_mov_b64 exec, s[32:33]                                   // 000000006DDC: BEFE0120
	global_atomic_pk_add_f16 v92, v76, s[8:9]                  // 000000006DE0: DD388000 00084C5C
	s_mov_b64 exec, s[36:37]                                   // 000000006DE8: BEFE0124
	s_mov_b64 exec, s[32:33]                                   // 000000006DEC: BEFE0120
	global_atomic_pk_add_f16 v92, v77, s[8:9] offset:256       // 000000006DF0: DD388100 00084D5C
	s_mov_b64 exec, s[36:37]                                   // 000000006DF8: BEFE0124
	s_mov_b64 exec, s[34:35]                                   // 000000006DFC: BEFE0122
	global_atomic_pk_add_f16 v94, v78, s[8:9]                  // 000000006E00: DD388000 00084E5E
	s_mov_b64 exec, s[36:37]                                   // 000000006E08: BEFE0124
	s_mov_b64 exec, s[34:35]                                   // 000000006E0C: BEFE0122
	global_atomic_pk_add_f16 v94, v79, s[8:9] offset:256       // 000000006E10: DD388100 00084F5E
	s_mov_b64 exec, s[36:37]                                   // 000000006E18: BEFE0124
	s_add_u32 s8, s59, s8                                      // 000000006E1C: 8008083B
	s_addc_u32 s9, 0, s9                                       // 000000006E20: 82090980
	s_addk_i32 s80, 0x100                                      // 000000006E24: B7500100
	s_cmp_lt_i32 s80, s81                                      // 000000006E28: BF045150
	s_cbranch_scc0 label_100D                                  // 000000006E2C: BF840001
	s_branch label_0A02                                        // 000000006E30: BF82F9F5

0000000000006e34 <label_100D>:
	s_nop 0                                                    // 000000006E34: BF800000
	s_nop 0                                                    // 000000006E38: BF800000
	s_branch label_1D9B                                        // 000000006E3C: BF820D8B

0000000000006e40 <label_1010>:
	s_waitcnt vmcnt(16) lgkmcnt(0)                             // 000000006E40: BF8C4070
	s_barrier                                                  // 000000006E44: BF8A0000
	v_mfma_i32_16x16x32_i8 v[128:131], a[0:1], v[176:177], v[128:131]// 000000006E48: D3D70080 0E036100
	buffer_load_dwordx4 a[96:99], v34, s[24:27], 0 offen       // 000000006E50: E05C1000 80866022
	v_mfma_i32_16x16x32_i8 v[128:131], a[2:3], v[178:179], v[128:131]// 000000006E58: D3D70080 0E036502
	v_mfma_i32_16x16x32_i8 v[128:131], a[4:5], v[180:181], v[128:131]// 000000006E60: D3D70080 0E036904
	buffer_load_dword v26, s[20:23], 0 offen lds               // 000000006E68: E0511000 8005001A
	s_add_u32 m0, 0x100, s50                                   // 000000006E70: 807C32FF 00000100
	v_mfma_i32_16x16x32_i8 v[128:131], a[6:7], v[182:183], v[128:131]// 000000006E78: D3D70080 0E036D06
	v_mfma_i32_16x16x32_i8 v[128:131], a[8:9], v[184:185], v[128:131]// 000000006E80: D3D70080 0E037108
	buffer_load_dwordx4 a[100:103], v34, s[24:27], 0 offen offset:1024// 000000006E88: E05C1400 80866422
	v_mfma_i32_16x16x32_i8 v[128:131], a[10:11], v[186:187], v[128:131]// 000000006E90: D3D70080 0E03750A
	v_mfma_i32_16x16x32_i8 v[128:131], a[12:13], v[188:189], v[128:131]// 000000006E98: D3D70080 0E03790C
	buffer_load_dword v27, s[20:23], 0 offen lds               // 000000006EA0: E0511000 8005001B
	s_add_u32 m0, 0x200, s50                                   // 000000006EA8: 807C32FF 00000200
	v_mfma_i32_16x16x32_i8 v[128:131], a[14:15], v[190:191], v[128:131]// 000000006EB0: D3D70080 0E037D0E
	v_mfma_i32_16x16x32_i8 v[132:135], a[0:1], v[192:193], v[132:135]// 000000006EB8: D3D70084 0E138100
	buffer_load_dwordx4 a[104:107], v34, s[24:27], 0 offen offset:2048// 000000006EC0: E05C1800 80866822
	v_mfma_i32_16x16x32_i8 v[132:135], a[2:3], v[194:195], v[132:135]// 000000006EC8: D3D70084 0E138502
	v_mfma_i32_16x16x32_i8 v[132:135], a[4:5], v[196:197], v[132:135]// 000000006ED0: D3D70084 0E138904
	buffer_load_dword v28, s[20:23], 0 offen lds               // 000000006ED8: E0511000 8005001C
	s_add_u32 m0, 0x300, s50                                   // 000000006EE0: 807C32FF 00000300
	v_mfma_i32_16x16x32_i8 v[132:135], a[6:7], v[198:199], v[132:135]// 000000006EE8: D3D70084 0E138D06
	v_mfma_i32_16x16x32_i8 v[132:135], a[8:9], v[200:201], v[132:135]// 000000006EF0: D3D70084 0E139108
	buffer_load_dwordx4 a[108:111], v34, s[24:27], 0 offen offset:3072// 000000006EF8: E05C1C00 80866C22
	v_mfma_i32_16x16x32_i8 v[132:135], a[10:11], v[202:203], v[132:135]// 000000006F00: D3D70084 0E13950A
	v_mfma_i32_16x16x32_i8 v[132:135], a[12:13], v[204:205], v[132:135]// 000000006F08: D3D70084 0E13990C
	buffer_load_dword v29, s[20:23], 0 offen lds               // 000000006F10: E0511000 8005001D
	s_add_u32 m0, 0x400, s50                                   // 000000006F18: 807C32FF 00000400
	v_mfma_i32_16x16x32_i8 v[132:135], a[14:15], v[206:207], v[132:135]// 000000006F20: D3D70084 0E139D0E
	v_mfma_i32_16x16x32_i8 v[136:139], a[16:17], v[176:177], v[136:139]// 000000006F28: D3D70088 0E236110
	buffer_load_dwordx4 a[112:115], v35, s[24:27], 0 offen     // 000000006F30: E05C1000 80867023
	v_mfma_i32_16x16x32_i8 v[136:139], a[18:19], v[178:179], v[136:139]// 000000006F38: D3D70088 0E236512
	v_mfma_i32_16x16x32_i8 v[136:139], a[20:21], v[180:181], v[136:139]// 000000006F40: D3D70088 0E236914
	buffer_load_dword v30, s[20:23], 0 offen lds               // 000000006F48: E0511000 8005001E
	s_add_u32 m0, 0x500, s50                                   // 000000006F50: 807C32FF 00000500
	v_mfma_i32_16x16x32_i8 v[136:139], a[22:23], v[182:183], v[136:139]// 000000006F58: D3D70088 0E236D16
	v_mfma_i32_16x16x32_i8 v[136:139], a[24:25], v[184:185], v[136:139]// 000000006F60: D3D70088 0E237118
	buffer_load_dwordx4 a[116:119], v35, s[24:27], 0 offen offset:1024// 000000006F68: E05C1400 80867423
	v_mfma_i32_16x16x32_i8 v[136:139], a[26:27], v[186:187], v[136:139]// 000000006F70: D3D70088 0E23751A
	v_mfma_i32_16x16x32_i8 v[136:139], a[28:29], v[188:189], v[136:139]// 000000006F78: D3D70088 0E23791C
	buffer_load_dword v31, s[20:23], 0 offen lds               // 000000006F80: E0511000 8005001F
	s_add_u32 m0, 0x600, s50                                   // 000000006F88: 807C32FF 00000600
	v_mfma_i32_16x16x32_i8 v[136:139], a[30:31], v[190:191], v[136:139]// 000000006F90: D3D70088 0E237D1E
	v_mfma_i32_16x16x32_i8 v[140:143], a[16:17], v[192:193], v[140:143]// 000000006F98: D3D7008C 0E338110
	buffer_load_dwordx4 a[120:123], v35, s[24:27], 0 offen offset:2048// 000000006FA0: E05C1800 80867823
	v_mfma_i32_16x16x32_i8 v[140:143], a[18:19], v[194:195], v[140:143]// 000000006FA8: D3D7008C 0E338512
	v_mfma_i32_16x16x32_i8 v[140:143], a[20:21], v[196:197], v[140:143]// 000000006FB0: D3D7008C 0E338914
	buffer_load_dword v32, s[20:23], 0 offen lds               // 000000006FB8: E0511000 80050020
	s_add_u32 m0, 0x700, s50                                   // 000000006FC0: 807C32FF 00000700
	v_mfma_i32_16x16x32_i8 v[140:143], a[22:23], v[198:199], v[140:143]// 000000006FC8: D3D7008C 0E338D16
	v_mfma_i32_16x16x32_i8 v[140:143], a[24:25], v[200:201], v[140:143]// 000000006FD0: D3D7008C 0E339118
	buffer_load_dwordx4 a[124:127], v35, s[24:27], 0 offen offset:3072// 000000006FD8: E05C1C00 80867C23
	v_mfma_i32_16x16x32_i8 v[140:143], a[26:27], v[202:203], v[140:143]// 000000006FE0: D3D7008C 0E33951A
	v_mfma_i32_16x16x32_i8 v[140:143], a[28:29], v[204:205], v[140:143]// 000000006FE8: D3D7008C 0E33991C
	buffer_load_dword v33, s[20:23], 0 offen lds               // 000000006FF0: E0511000 80050021
	s_add_u32 m0, 0, s51                                       // 000000006FF8: 807C3380
	v_mfma_i32_16x16x32_i8 v[140:143], a[30:31], v[206:207], v[140:143]// 000000006FFC: D3D7008C 0E339D1E
	s_waitcnt vmcnt(28)                                        // 000000007004: BF8C4F7C
	v_mfma_i32_16x16x32_i8 v[144:147], a[32:33], v[176:177], v[144:147]// 000000007008: D3D70090 0E436120
	buffer_load_dwordx4 a[128:131], v36, s[24:27], 0 offen     // 000000007010: E05C1000 80868024
	v_mfma_i32_16x16x32_i8 v[144:147], a[34:35], v[178:179], v[144:147]// 000000007018: D3D70090 0E436522
	v_mfma_i32_16x16x32_i8 v[144:147], a[36:37], v[180:181], v[144:147]// 000000007020: D3D70090 0E436924
	ds_read_b128 v[208:211], v2 offset:8320                    // 000000007028: D9FE2080 D0000002
	v_mfma_i32_16x16x32_i8 v[144:147], a[38:39], v[182:183], v[144:147]// 000000007030: D3D70090 0E436D26
	v_mfma_i32_16x16x32_i8 v[144:147], a[40:41], v[184:185], v[144:147]// 000000007038: D3D70090 0E437128
	buffer_load_dwordx4 a[132:135], v36, s[24:27], 0 offen offset:1024// 000000007040: E05C1400 80868424
	v_mfma_i32_16x16x32_i8 v[144:147], a[42:43], v[186:187], v[144:147]// 000000007048: D3D70090 0E43752A
	v_mfma_i32_16x16x32_i8 v[144:147], a[44:45], v[188:189], v[144:147]// 000000007050: D3D70090 0E43792C
	ds_read_b128 v[212:215], v2 offset:8384                    // 000000007058: D9FE20C0 D4000002
	v_mfma_i32_16x16x32_i8 v[144:147], a[46:47], v[190:191], v[144:147]// 000000007060: D3D70090 0E437D2E
	v_mfma_i32_16x16x32_i8 v[148:151], a[32:33], v[192:193], v[148:151]// 000000007068: D3D70094 0E538120
	buffer_load_dwordx4 a[136:139], v36, s[24:27], 0 offen offset:2048// 000000007070: E05C1800 80868824
	v_mfma_i32_16x16x32_i8 v[148:151], a[34:35], v[194:195], v[148:151]// 000000007078: D3D70094 0E538522
	v_mfma_i32_16x16x32_i8 v[148:151], a[36:37], v[196:197], v[148:151]// 000000007080: D3D70094 0E538924
	ds_read_b128 v[216:219], v2 offset:8448                    // 000000007088: D9FE2100 D8000002
	v_mfma_i32_16x16x32_i8 v[148:151], a[38:39], v[198:199], v[148:151]// 000000007090: D3D70094 0E538D26
	v_mfma_i32_16x16x32_i8 v[148:151], a[40:41], v[200:201], v[148:151]// 000000007098: D3D70094 0E539128
	buffer_load_dwordx4 a[140:143], v36, s[24:27], 0 offen offset:3072// 0000000070A0: E05C1C00 80868C24
	v_mfma_i32_16x16x32_i8 v[148:151], a[42:43], v[202:203], v[148:151]// 0000000070A8: D3D70094 0E53952A
	v_mfma_i32_16x16x32_i8 v[148:151], a[44:45], v[204:205], v[148:151]// 0000000070B0: D3D70094 0E53992C
	ds_read_b128 v[220:223], v2 offset:8512                    // 0000000070B8: D9FE2140 DC000002
	v_mfma_i32_16x16x32_i8 v[148:151], a[46:47], v[206:207], v[148:151]// 0000000070C0: D3D70094 0E539D2E
	s_waitcnt vmcnt(28)                                        // 0000000070C8: BF8C4F7C
	v_mfma_i32_16x16x32_i8 v[152:155], a[48:49], v[176:177], v[152:155]// 0000000070CC: D3D70098 0E636130
	buffer_load_dwordx4 a[144:147], v37, s[24:27], 0 offen     // 0000000070D4: E05C1000 80869025
	v_mfma_i32_16x16x32_i8 v[152:155], a[50:51], v[178:179], v[152:155]// 0000000070DC: D3D70098 0E636532
	v_mfma_i32_16x16x32_i8 v[152:155], a[52:53], v[180:181], v[152:155]// 0000000070E4: D3D70098 0E636934
	ds_read_b128 v[224:227], v2 offset:9344                    // 0000000070EC: D9FE2480 E0000002
	v_mfma_i32_16x16x32_i8 v[152:155], a[54:55], v[182:183], v[152:155]// 0000000070F4: D3D70098 0E636D36
	v_mfma_i32_16x16x32_i8 v[152:155], a[56:57], v[184:185], v[152:155]// 0000000070FC: D3D70098 0E637138
	buffer_load_dwordx4 a[148:151], v37, s[24:27], 0 offen offset:1024// 000000007104: E05C1400 80869425
	v_mfma_i32_16x16x32_i8 v[152:155], a[58:59], v[186:187], v[152:155]// 00000000710C: D3D70098 0E63753A
	v_mfma_i32_16x16x32_i8 v[152:155], a[60:61], v[188:189], v[152:155]// 000000007114: D3D70098 0E63793C
	ds_read_b128 v[228:231], v2 offset:9408                    // 00000000711C: D9FE24C0 E4000002
	v_mfma_i32_16x16x32_i8 v[152:155], a[62:63], v[190:191], v[152:155]// 000000007124: D3D70098 0E637D3E
	v_mfma_i32_16x16x32_i8 v[156:159], a[48:49], v[192:193], v[156:159]// 00000000712C: D3D7009C 0E738130
	buffer_load_dwordx4 a[152:155], v37, s[24:27], 0 offen offset:2048// 000000007134: E05C1800 80869825
	v_mfma_i32_16x16x32_i8 v[156:159], a[50:51], v[194:195], v[156:159]// 00000000713C: D3D7009C 0E738532
	v_mfma_i32_16x16x32_i8 v[156:159], a[52:53], v[196:197], v[156:159]// 000000007144: D3D7009C 0E738934
	ds_read_b128 v[232:235], v2 offset:9472                    // 00000000714C: D9FE2500 E8000002
	v_mfma_i32_16x16x32_i8 v[156:159], a[54:55], v[198:199], v[156:159]// 000000007154: D3D7009C 0E738D36
	v_mfma_i32_16x16x32_i8 v[156:159], a[56:57], v[200:201], v[156:159]// 00000000715C: D3D7009C 0E739138
	buffer_load_dwordx4 a[156:159], v37, s[24:27], 0 offen offset:3072// 000000007164: E05C1C00 80869C25
	v_mfma_i32_16x16x32_i8 v[156:159], a[58:59], v[202:203], v[156:159]// 00000000716C: D3D7009C 0E73953A
	v_mfma_i32_16x16x32_i8 v[156:159], a[60:61], v[204:205], v[156:159]// 000000007174: D3D7009C 0E73993C
	ds_read_b128 v[236:239], v2 offset:9536                    // 00000000717C: D9FE2540 EC000002
	v_mfma_i32_16x16x32_i8 v[156:159], a[62:63], v[206:207], v[156:159]// 000000007184: D3D7009C 0E739D3E
	s_waitcnt vmcnt(28)                                        // 00000000718C: BF8C4F7C
	v_mfma_i32_16x16x32_i8 v[160:163], a[64:65], v[176:177], v[160:163]// 000000007190: D3D700A0 0E836140
	buffer_load_dwordx4 a[160:163], v38, s[24:27], 0 offen     // 000000007198: E05C1000 8086A026
	v_mfma_i32_16x16x32_i8 v[160:163], a[66:67], v[178:179], v[160:163]// 0000000071A0: D3D700A0 0E836542
	v_mfma_i32_16x16x32_i8 v[160:163], a[68:69], v[180:181], v[160:163]// 0000000071A8: D3D700A0 0E836944
	v_mfma_i32_16x16x32_i8 v[160:163], a[70:71], v[182:183], v[160:163]// 0000000071B0: D3D700A0 0E836D46
	v_mfma_i32_16x16x32_i8 v[160:163], a[72:73], v[184:185], v[160:163]// 0000000071B8: D3D700A0 0E837148
	buffer_load_dwordx4 a[164:167], v38, s[24:27], 0 offen offset:1024// 0000000071C0: E05C1400 8086A426
	v_mfma_i32_16x16x32_i8 v[160:163], a[74:75], v[186:187], v[160:163]// 0000000071C8: D3D700A0 0E83754A
	v_mfma_i32_16x16x32_i8 v[160:163], a[76:77], v[188:189], v[160:163]// 0000000071D0: D3D700A0 0E83794C
	v_mfma_i32_16x16x32_i8 v[160:163], a[78:79], v[190:191], v[160:163]// 0000000071D8: D3D700A0 0E837D4E
	v_mfma_i32_16x16x32_i8 v[164:167], a[64:65], v[192:193], v[164:167]// 0000000071E0: D3D700A4 0E938140
	buffer_load_dwordx4 a[168:171], v38, s[24:27], 0 offen offset:2048// 0000000071E8: E05C1800 8086A826
	v_mfma_i32_16x16x32_i8 v[164:167], a[66:67], v[194:195], v[164:167]// 0000000071F0: D3D700A4 0E938542
	v_mfma_i32_16x16x32_i8 v[164:167], a[68:69], v[196:197], v[164:167]// 0000000071F8: D3D700A4 0E938944
	v_mfma_i32_16x16x32_i8 v[164:167], a[70:71], v[198:199], v[164:167]// 000000007200: D3D700A4 0E938D46
	v_mfma_i32_16x16x32_i8 v[164:167], a[72:73], v[200:201], v[164:167]// 000000007208: D3D700A4 0E939148
	buffer_load_dwordx4 a[172:175], v38, s[24:27], 0 offen offset:3072// 000000007210: E05C1C00 8086AC26
	v_mfma_i32_16x16x32_i8 v[164:167], a[74:75], v[202:203], v[164:167]// 000000007218: D3D700A4 0E93954A
	v_mfma_i32_16x16x32_i8 v[164:167], a[76:77], v[204:205], v[164:167]// 000000007220: D3D700A4 0E93994C
	v_mfma_i32_16x16x32_i8 v[164:167], a[78:79], v[206:207], v[164:167]// 000000007228: D3D700A4 0E939D4E
	s_waitcnt vmcnt(28)                                        // 000000007230: BF8C4F7C
	v_mfma_i32_16x16x32_i8 v[168:171], a[80:81], v[176:177], v[168:171]// 000000007234: D3D700A8 0EA36150
	buffer_load_dwordx4 a[176:179], v39, s[24:27], 0 offen     // 00000000723C: E05C1000 8086B027
	v_mfma_i32_16x16x32_i8 v[168:171], a[82:83], v[178:179], v[168:171]// 000000007244: D3D700A8 0EA36552
	v_mfma_i32_16x16x32_i8 v[168:171], a[84:85], v[180:181], v[168:171]// 00000000724C: D3D700A8 0EA36954
	v_mfma_i32_16x16x32_i8 v[168:171], a[86:87], v[182:183], v[168:171]// 000000007254: D3D700A8 0EA36D56
	v_mfma_i32_16x16x32_i8 v[168:171], a[88:89], v[184:185], v[168:171]// 00000000725C: D3D700A8 0EA37158
	buffer_load_dwordx4 a[180:183], v39, s[24:27], 0 offen offset:1024// 000000007264: E05C1400 8086B427
	v_mfma_i32_16x16x32_i8 v[168:171], a[90:91], v[186:187], v[168:171]// 00000000726C: D3D700A8 0EA3755A
	v_mfma_i32_16x16x32_i8 v[168:171], a[92:93], v[188:189], v[168:171]// 000000007274: D3D700A8 0EA3795C
	v_mfma_i32_16x16x32_i8 v[168:171], a[94:95], v[190:191], v[168:171]// 00000000727C: D3D700A8 0EA37D5E
	v_mfma_i32_16x16x32_i8 v[172:175], a[80:81], v[192:193], v[172:175]// 000000007284: D3D700AC 0EB38150
	buffer_load_dwordx4 a[184:187], v39, s[24:27], 0 offen offset:2048// 00000000728C: E05C1800 8086B827
	v_mfma_i32_16x16x32_i8 v[172:175], a[82:83], v[194:195], v[172:175]// 000000007294: D3D700AC 0EB38552
	v_mfma_i32_16x16x32_i8 v[172:175], a[84:85], v[196:197], v[172:175]// 00000000729C: D3D700AC 0EB38954
	v_mfma_i32_16x16x32_i8 v[172:175], a[86:87], v[198:199], v[172:175]// 0000000072A4: D3D700AC 0EB38D56
	v_mfma_i32_16x16x32_i8 v[172:175], a[88:89], v[200:201], v[172:175]// 0000000072AC: D3D700AC 0EB39158
	buffer_load_dwordx4 a[188:191], v39, s[24:27], 0 offen offset:3072// 0000000072B4: E05C1C00 8086BC27
	v_mfma_i32_16x16x32_i8 v[172:175], a[90:91], v[202:203], v[172:175]// 0000000072BC: D3D700AC 0EB3955A
	v_mfma_i32_16x16x32_i8 v[172:175], a[92:93], v[204:205], v[172:175]// 0000000072C4: D3D700AC 0EB3995C
	v_mfma_i32_16x16x32_i8 v[172:175], a[94:95], v[206:207], v[172:175]// 0000000072CC: D3D700AC 0EB39D5E
	s_add_u32 s60, 0x300, s80                                  // 0000000072D4: 803C50FF 00000300
	s_cmp_lt_u32 s60, s81                                      // 0000000072DC: BF0A513C
	s_cselect_b32 s57, s57, 0                                  // 0000000072E0: 85398039
	s_add_u32 s60, 0x200, s80                                  // 0000000072E4: 803C50FF 00000200
	s_cmp_lt_u32 s60, s81                                      // 0000000072EC: BF0A513C
	s_cselect_b32 s58, s58, 0                                  // 0000000072F0: 853A803A
	s_add_u32 s20, s57, s20                                    // 0000000072F4: 80141439
	s_addc_u32 s21, 0, s21                                     // 0000000072F8: 82151580
	s_add_u32 s24, s58, s24                                    // 0000000072FC: 8018183A
	s_addc_u32 s25, 0, s25                                     // 000000007300: 82191980
	s_addk_i32 s80, 0x100                                      // 000000007304: B7500100
	s_cmp_lt_i32 s80, s81                                      // 000000007308: BF045150
	s_cbranch_scc0 label_1279                                  // 00000000730C: BF840135
	s_waitcnt vmcnt(16) lgkmcnt(0)                             // 000000007310: BF8C4070
	s_barrier                                                  // 000000007314: BF8A0000
	v_mfma_i32_16x16x32_i8 v[128:131], a[96:97], v[208:209], v[128:131]// 000000007318: D3D70080 0E03A160
	buffer_load_dwordx4 a[0:3], v34, s[24:27], 0 offen         // 000000007320: E05C1000 80860022
	v_mfma_i32_16x16x32_i8 v[128:131], a[98:99], v[210:211], v[128:131]// 000000007328: D3D70080 0E03A562
	v_mfma_i32_16x16x32_i8 v[128:131], a[100:101], v[212:213], v[128:131]// 000000007330: D3D70080 0E03A964
	buffer_load_dword v26, s[20:23], 0 offen lds               // 000000007338: E0511000 8005001A
	s_add_u32 m0, 0x100, s51                                   // 000000007340: 807C33FF 00000100
	v_mfma_i32_16x16x32_i8 v[128:131], a[102:103], v[214:215], v[128:131]// 000000007348: D3D70080 0E03AD66
	v_mfma_i32_16x16x32_i8 v[128:131], a[104:105], v[216:217], v[128:131]// 000000007350: D3D70080 0E03B168
	buffer_load_dwordx4 a[4:7], v34, s[24:27], 0 offen offset:1024// 000000007358: E05C1400 80860422
	v_mfma_i32_16x16x32_i8 v[128:131], a[106:107], v[218:219], v[128:131]// 000000007360: D3D70080 0E03B56A
	v_mfma_i32_16x16x32_i8 v[128:131], a[108:109], v[220:221], v[128:131]// 000000007368: D3D70080 0E03B96C
	buffer_load_dword v27, s[20:23], 0 offen lds               // 000000007370: E0511000 8005001B
	s_add_u32 m0, 0x200, s51                                   // 000000007378: 807C33FF 00000200
	v_mfma_i32_16x16x32_i8 v[128:131], a[110:111], v[222:223], v[128:131]// 000000007380: D3D70080 0E03BD6E
	v_mfma_i32_16x16x32_i8 v[132:135], a[96:97], v[224:225], v[132:135]// 000000007388: D3D70084 0E13C160
	buffer_load_dwordx4 a[8:11], v34, s[24:27], 0 offen offset:2048// 000000007390: E05C1800 80860822
	v_mfma_i32_16x16x32_i8 v[132:135], a[98:99], v[226:227], v[132:135]// 000000007398: D3D70084 0E13C562
	v_mfma_i32_16x16x32_i8 v[132:135], a[100:101], v[228:229], v[132:135]// 0000000073A0: D3D70084 0E13C964
	buffer_load_dword v28, s[20:23], 0 offen lds               // 0000000073A8: E0511000 8005001C
	s_add_u32 m0, 0x300, s51                                   // 0000000073B0: 807C33FF 00000300
	v_mfma_i32_16x16x32_i8 v[132:135], a[102:103], v[230:231], v[132:135]// 0000000073B8: D3D70084 0E13CD66
	v_mfma_i32_16x16x32_i8 v[132:135], a[104:105], v[232:233], v[132:135]// 0000000073C0: D3D70084 0E13D168
	buffer_load_dwordx4 a[12:15], v34, s[24:27], 0 offen offset:3072// 0000000073C8: E05C1C00 80860C22
	v_mfma_i32_16x16x32_i8 v[132:135], a[106:107], v[234:235], v[132:135]// 0000000073D0: D3D70084 0E13D56A
	v_mfma_i32_16x16x32_i8 v[132:135], a[108:109], v[236:237], v[132:135]// 0000000073D8: D3D70084 0E13D96C
	buffer_load_dword v29, s[20:23], 0 offen lds               // 0000000073E0: E0511000 8005001D
	s_add_u32 m0, 0x400, s51                                   // 0000000073E8: 807C33FF 00000400
	v_mfma_i32_16x16x32_i8 v[132:135], a[110:111], v[238:239], v[132:135]// 0000000073F0: D3D70084 0E13DD6E
	v_mfma_i32_16x16x32_i8 v[136:139], a[112:113], v[208:209], v[136:139]// 0000000073F8: D3D70088 0E23A170
	buffer_load_dwordx4 a[16:19], v35, s[24:27], 0 offen       // 000000007400: E05C1000 80861023
	v_mfma_i32_16x16x32_i8 v[136:139], a[114:115], v[210:211], v[136:139]// 000000007408: D3D70088 0E23A572
	v_mfma_i32_16x16x32_i8 v[136:139], a[116:117], v[212:213], v[136:139]// 000000007410: D3D70088 0E23A974
	buffer_load_dword v30, s[20:23], 0 offen lds               // 000000007418: E0511000 8005001E
	s_add_u32 m0, 0x500, s51                                   // 000000007420: 807C33FF 00000500
	v_mfma_i32_16x16x32_i8 v[136:139], a[118:119], v[214:215], v[136:139]// 000000007428: D3D70088 0E23AD76
	v_mfma_i32_16x16x32_i8 v[136:139], a[120:121], v[216:217], v[136:139]// 000000007430: D3D70088 0E23B178
	buffer_load_dwordx4 a[20:23], v35, s[24:27], 0 offen offset:1024// 000000007438: E05C1400 80861423
	v_mfma_i32_16x16x32_i8 v[136:139], a[122:123], v[218:219], v[136:139]// 000000007440: D3D70088 0E23B57A
	v_mfma_i32_16x16x32_i8 v[136:139], a[124:125], v[220:221], v[136:139]// 000000007448: D3D70088 0E23B97C
	buffer_load_dword v31, s[20:23], 0 offen lds               // 000000007450: E0511000 8005001F
	s_add_u32 m0, 0x600, s51                                   // 000000007458: 807C33FF 00000600
	v_mfma_i32_16x16x32_i8 v[136:139], a[126:127], v[222:223], v[136:139]// 000000007460: D3D70088 0E23BD7E
	v_mfma_i32_16x16x32_i8 v[140:143], a[112:113], v[224:225], v[140:143]// 000000007468: D3D7008C 0E33C170
	buffer_load_dwordx4 a[24:27], v35, s[24:27], 0 offen offset:2048// 000000007470: E05C1800 80861823
	v_mfma_i32_16x16x32_i8 v[140:143], a[114:115], v[226:227], v[140:143]// 000000007478: D3D7008C 0E33C572
	v_mfma_i32_16x16x32_i8 v[140:143], a[116:117], v[228:229], v[140:143]// 000000007480: D3D7008C 0E33C974
	buffer_load_dword v32, s[20:23], 0 offen lds               // 000000007488: E0511000 80050020
	s_add_u32 m0, 0x700, s51                                   // 000000007490: 807C33FF 00000700
	v_mfma_i32_16x16x32_i8 v[140:143], a[118:119], v[230:231], v[140:143]// 000000007498: D3D7008C 0E33CD76
	v_mfma_i32_16x16x32_i8 v[140:143], a[120:121], v[232:233], v[140:143]// 0000000074A0: D3D7008C 0E33D178
	buffer_load_dwordx4 a[28:31], v35, s[24:27], 0 offen offset:3072// 0000000074A8: E05C1C00 80861C23
	v_mfma_i32_16x16x32_i8 v[140:143], a[122:123], v[234:235], v[140:143]// 0000000074B0: D3D7008C 0E33D57A
	v_mfma_i32_16x16x32_i8 v[140:143], a[124:125], v[236:237], v[140:143]// 0000000074B8: D3D7008C 0E33D97C
	buffer_load_dword v33, s[20:23], 0 offen lds               // 0000000074C0: E0511000 80050021
	s_add_u32 m0, 0, s50                                       // 0000000074C8: 807C3280
	v_mfma_i32_16x16x32_i8 v[140:143], a[126:127], v[238:239], v[140:143]// 0000000074CC: D3D7008C 0E33DD7E
	s_waitcnt vmcnt(28)                                        // 0000000074D4: BF8C4F7C
	v_mfma_i32_16x16x32_i8 v[144:147], a[128:129], v[208:209], v[144:147]// 0000000074D8: D3D70090 0E43A180
	buffer_load_dwordx4 a[32:35], v36, s[24:27], 0 offen       // 0000000074E0: E05C1000 80862024
	v_mfma_i32_16x16x32_i8 v[144:147], a[130:131], v[210:211], v[144:147]// 0000000074E8: D3D70090 0E43A582
	v_mfma_i32_16x16x32_i8 v[144:147], a[132:133], v[212:213], v[144:147]// 0000000074F0: D3D70090 0E43A984
	ds_read_b128 v[176:179], v2                                // 0000000074F8: D9FE0000 B0000002
	v_mfma_i32_16x16x32_i8 v[144:147], a[134:135], v[214:215], v[144:147]// 000000007500: D3D70090 0E43AD86
	v_mfma_i32_16x16x32_i8 v[144:147], a[136:137], v[216:217], v[144:147]// 000000007508: D3D70090 0E43B188
	buffer_load_dwordx4 a[36:39], v36, s[24:27], 0 offen offset:1024// 000000007510: E05C1400 80862424
	v_mfma_i32_16x16x32_i8 v[144:147], a[138:139], v[218:219], v[144:147]// 000000007518: D3D70090 0E43B58A
	v_mfma_i32_16x16x32_i8 v[144:147], a[140:141], v[220:221], v[144:147]// 000000007520: D3D70090 0E43B98C
	ds_read_b128 v[180:183], v2 offset:64                      // 000000007528: D9FE0040 B4000002
	v_mfma_i32_16x16x32_i8 v[144:147], a[142:143], v[222:223], v[144:147]// 000000007530: D3D70090 0E43BD8E
	v_mfma_i32_16x16x32_i8 v[148:151], a[128:129], v[224:225], v[148:151]// 000000007538: D3D70094 0E53C180
	buffer_load_dwordx4 a[40:43], v36, s[24:27], 0 offen offset:2048// 000000007540: E05C1800 80862824
	v_mfma_i32_16x16x32_i8 v[148:151], a[130:131], v[226:227], v[148:151]// 000000007548: D3D70094 0E53C582
	v_mfma_i32_16x16x32_i8 v[148:151], a[132:133], v[228:229], v[148:151]// 000000007550: D3D70094 0E53C984
	ds_read_b128 v[184:187], v2 offset:128                     // 000000007558: D9FE0080 B8000002
	v_mfma_i32_16x16x32_i8 v[148:151], a[134:135], v[230:231], v[148:151]// 000000007560: D3D70094 0E53CD86
	v_mfma_i32_16x16x32_i8 v[148:151], a[136:137], v[232:233], v[148:151]// 000000007568: D3D70094 0E53D188
	buffer_load_dwordx4 a[44:47], v36, s[24:27], 0 offen offset:3072// 000000007570: E05C1C00 80862C24
	v_mfma_i32_16x16x32_i8 v[148:151], a[138:139], v[234:235], v[148:151]// 000000007578: D3D70094 0E53D58A
	v_mfma_i32_16x16x32_i8 v[148:151], a[140:141], v[236:237], v[148:151]// 000000007580: D3D70094 0E53D98C
	ds_read_b128 v[188:191], v2 offset:192                     // 000000007588: D9FE00C0 BC000002
	v_mfma_i32_16x16x32_i8 v[148:151], a[142:143], v[238:239], v[148:151]// 000000007590: D3D70094 0E53DD8E
	s_waitcnt vmcnt(28)                                        // 000000007598: BF8C4F7C
	v_mfma_i32_16x16x32_i8 v[152:155], a[144:145], v[208:209], v[152:155]// 00000000759C: D3D70098 0E63A190
	buffer_load_dwordx4 a[48:51], v37, s[24:27], 0 offen       // 0000000075A4: E05C1000 80863025
	v_mfma_i32_16x16x32_i8 v[152:155], a[146:147], v[210:211], v[152:155]// 0000000075AC: D3D70098 0E63A592
	v_mfma_i32_16x16x32_i8 v[152:155], a[148:149], v[212:213], v[152:155]// 0000000075B4: D3D70098 0E63A994
	ds_read_b128 v[192:195], v2 offset:1024                    // 0000000075BC: D9FE0400 C0000002
	v_mfma_i32_16x16x32_i8 v[152:155], a[150:151], v[214:215], v[152:155]// 0000000075C4: D3D70098 0E63AD96
	v_mfma_i32_16x16x32_i8 v[152:155], a[152:153], v[216:217], v[152:155]// 0000000075CC: D3D70098 0E63B198
	buffer_load_dwordx4 a[52:55], v37, s[24:27], 0 offen offset:1024// 0000000075D4: E05C1400 80863425
	v_mfma_i32_16x16x32_i8 v[152:155], a[154:155], v[218:219], v[152:155]// 0000000075DC: D3D70098 0E63B59A
	v_mfma_i32_16x16x32_i8 v[152:155], a[156:157], v[220:221], v[152:155]// 0000000075E4: D3D70098 0E63B99C
	ds_read_b128 v[196:199], v2 offset:1088                    // 0000000075EC: D9FE0440 C4000002
	v_mfma_i32_16x16x32_i8 v[152:155], a[158:159], v[222:223], v[152:155]// 0000000075F4: D3D70098 0E63BD9E
	v_mfma_i32_16x16x32_i8 v[156:159], a[144:145], v[224:225], v[156:159]// 0000000075FC: D3D7009C 0E73C190
	buffer_load_dwordx4 a[56:59], v37, s[24:27], 0 offen offset:2048// 000000007604: E05C1800 80863825
	v_mfma_i32_16x16x32_i8 v[156:159], a[146:147], v[226:227], v[156:159]// 00000000760C: D3D7009C 0E73C592
	v_mfma_i32_16x16x32_i8 v[156:159], a[148:149], v[228:229], v[156:159]// 000000007614: D3D7009C 0E73C994
	ds_read_b128 v[200:203], v2 offset:1152                    // 00000000761C: D9FE0480 C8000002
	v_mfma_i32_16x16x32_i8 v[156:159], a[150:151], v[230:231], v[156:159]// 000000007624: D3D7009C 0E73CD96
	v_mfma_i32_16x16x32_i8 v[156:159], a[152:153], v[232:233], v[156:159]// 00000000762C: D3D7009C 0E73D198
	buffer_load_dwordx4 a[60:63], v37, s[24:27], 0 offen offset:3072// 000000007634: E05C1C00 80863C25
	v_mfma_i32_16x16x32_i8 v[156:159], a[154:155], v[234:235], v[156:159]// 00000000763C: D3D7009C 0E73D59A
	v_mfma_i32_16x16x32_i8 v[156:159], a[156:157], v[236:237], v[156:159]// 000000007644: D3D7009C 0E73D99C
	ds_read_b128 v[204:207], v2 offset:1216                    // 00000000764C: D9FE04C0 CC000002
	v_mfma_i32_16x16x32_i8 v[156:159], a[158:159], v[238:239], v[156:159]// 000000007654: D3D7009C 0E73DD9E
	s_waitcnt vmcnt(28)                                        // 00000000765C: BF8C4F7C
	v_mfma_i32_16x16x32_i8 v[160:163], a[160:161], v[208:209], v[160:163]// 000000007660: D3D700A0 0E83A1A0
	buffer_load_dwordx4 a[64:67], v38, s[24:27], 0 offen       // 000000007668: E05C1000 80864026
	v_mfma_i32_16x16x32_i8 v[160:163], a[162:163], v[210:211], v[160:163]// 000000007670: D3D700A0 0E83A5A2
	v_mfma_i32_16x16x32_i8 v[160:163], a[164:165], v[212:213], v[160:163]// 000000007678: D3D700A0 0E83A9A4
	v_mfma_i32_16x16x32_i8 v[160:163], a[166:167], v[214:215], v[160:163]// 000000007680: D3D700A0 0E83ADA6
	v_mfma_i32_16x16x32_i8 v[160:163], a[168:169], v[216:217], v[160:163]// 000000007688: D3D700A0 0E83B1A8
	buffer_load_dwordx4 a[68:71], v38, s[24:27], 0 offen offset:1024// 000000007690: E05C1400 80864426
	v_mfma_i32_16x16x32_i8 v[160:163], a[170:171], v[218:219], v[160:163]// 000000007698: D3D700A0 0E83B5AA
	v_mfma_i32_16x16x32_i8 v[160:163], a[172:173], v[220:221], v[160:163]// 0000000076A0: D3D700A0 0E83B9AC
	v_mfma_i32_16x16x32_i8 v[160:163], a[174:175], v[222:223], v[160:163]// 0000000076A8: D3D700A0 0E83BDAE
	v_mfma_i32_16x16x32_i8 v[164:167], a[160:161], v[224:225], v[164:167]// 0000000076B0: D3D700A4 0E93C1A0
	buffer_load_dwordx4 a[72:75], v38, s[24:27], 0 offen offset:2048// 0000000076B8: E05C1800 80864826
	v_mfma_i32_16x16x32_i8 v[164:167], a[162:163], v[226:227], v[164:167]// 0000000076C0: D3D700A4 0E93C5A2
	v_mfma_i32_16x16x32_i8 v[164:167], a[164:165], v[228:229], v[164:167]// 0000000076C8: D3D700A4 0E93C9A4
	v_mfma_i32_16x16x32_i8 v[164:167], a[166:167], v[230:231], v[164:167]// 0000000076D0: D3D700A4 0E93CDA6
	v_mfma_i32_16x16x32_i8 v[164:167], a[168:169], v[232:233], v[164:167]// 0000000076D8: D3D700A4 0E93D1A8
	buffer_load_dwordx4 a[76:79], v38, s[24:27], 0 offen offset:3072// 0000000076E0: E05C1C00 80864C26
	v_mfma_i32_16x16x32_i8 v[164:167], a[170:171], v[234:235], v[164:167]// 0000000076E8: D3D700A4 0E93D5AA
	v_mfma_i32_16x16x32_i8 v[164:167], a[172:173], v[236:237], v[164:167]// 0000000076F0: D3D700A4 0E93D9AC
	v_mfma_i32_16x16x32_i8 v[164:167], a[174:175], v[238:239], v[164:167]// 0000000076F8: D3D700A4 0E93DDAE
	s_waitcnt vmcnt(28)                                        // 000000007700: BF8C4F7C
	v_mfma_i32_16x16x32_i8 v[168:171], a[176:177], v[208:209], v[168:171]// 000000007704: D3D700A8 0EA3A1B0
	buffer_load_dwordx4 a[80:83], v39, s[24:27], 0 offen       // 00000000770C: E05C1000 80865027
	v_mfma_i32_16x16x32_i8 v[168:171], a[178:179], v[210:211], v[168:171]// 000000007714: D3D700A8 0EA3A5B2
	v_mfma_i32_16x16x32_i8 v[168:171], a[180:181], v[212:213], v[168:171]// 00000000771C: D3D700A8 0EA3A9B4
	v_mfma_i32_16x16x32_i8 v[168:171], a[182:183], v[214:215], v[168:171]// 000000007724: D3D700A8 0EA3ADB6
	v_mfma_i32_16x16x32_i8 v[168:171], a[184:185], v[216:217], v[168:171]// 00000000772C: D3D700A8 0EA3B1B8
	buffer_load_dwordx4 a[84:87], v39, s[24:27], 0 offen offset:1024// 000000007734: E05C1400 80865427
	v_mfma_i32_16x16x32_i8 v[168:171], a[186:187], v[218:219], v[168:171]// 00000000773C: D3D700A8 0EA3B5BA
	v_mfma_i32_16x16x32_i8 v[168:171], a[188:189], v[220:221], v[168:171]// 000000007744: D3D700A8 0EA3B9BC
	v_mfma_i32_16x16x32_i8 v[168:171], a[190:191], v[222:223], v[168:171]// 00000000774C: D3D700A8 0EA3BDBE
	v_mfma_i32_16x16x32_i8 v[172:175], a[176:177], v[224:225], v[172:175]// 000000007754: D3D700AC 0EB3C1B0
	buffer_load_dwordx4 a[88:91], v39, s[24:27], 0 offen offset:2048// 00000000775C: E05C1800 80865827
	v_mfma_i32_16x16x32_i8 v[172:175], a[178:179], v[226:227], v[172:175]// 000000007764: D3D700AC 0EB3C5B2
	v_mfma_i32_16x16x32_i8 v[172:175], a[180:181], v[228:229], v[172:175]// 00000000776C: D3D700AC 0EB3C9B4
	v_mfma_i32_16x16x32_i8 v[172:175], a[182:183], v[230:231], v[172:175]// 000000007774: D3D700AC 0EB3CDB6
	v_mfma_i32_16x16x32_i8 v[172:175], a[184:185], v[232:233], v[172:175]// 00000000777C: D3D700AC 0EB3D1B8
	buffer_load_dwordx4 a[92:95], v39, s[24:27], 0 offen offset:3072// 000000007784: E05C1C00 80865C27
	v_mfma_i32_16x16x32_i8 v[172:175], a[186:187], v[234:235], v[172:175]// 00000000778C: D3D700AC 0EB3D5BA
	v_mfma_i32_16x16x32_i8 v[172:175], a[188:189], v[236:237], v[172:175]// 000000007794: D3D700AC 0EB3D9BC
	v_mfma_i32_16x16x32_i8 v[172:175], a[190:191], v[238:239], v[172:175]// 00000000779C: D3D700AC 0EB3DDBE
	s_add_u32 s60, 0x300, s80                                  // 0000000077A4: 803C50FF 00000300
	s_cmp_lt_u32 s60, s81                                      // 0000000077AC: BF0A513C
	s_cselect_b32 s57, s57, 0                                  // 0000000077B0: 85398039
	s_add_u32 s60, 0x200, s80                                  // 0000000077B4: 803C50FF 00000200
	s_cmp_lt_u32 s60, s81                                      // 0000000077BC: BF0A513C
	s_cselect_b32 s58, s58, 0                                  // 0000000077C0: 853A803A
	s_add_u32 s20, s57, s20                                    // 0000000077C4: 80141439
	s_addc_u32 s21, 0, s21                                     // 0000000077C8: 82151580
	s_add_u32 s24, s58, s24                                    // 0000000077CC: 8018183A
	s_addc_u32 s25, 0, s25                                     // 0000000077D0: 82191980
	s_addk_i32 s80, 0x100                                      // 0000000077D4: B7500100
	s_cmp_lt_i32 s80, s81                                      // 0000000077D8: BF045150
	s_cbranch_scc0 label_1279                                  // 0000000077DC: BF840001
	s_branch label_1010                                        // 0000000077E0: BF82FD97

00000000000077e4 <label_1279>:
	s_mov_b32 s36, -1                                          // 0000000077E4: BEA400C1
	s_mov_b32 s37, -1                                          // 0000000077E8: BEA500C1
	s_mov_b64 s[60:61], 0                                      // 0000000077EC: BEBC0180
	s_cmp_lt_u32 s82, s66                                      // 0000000077F0: BF0A4252
	s_cselect_b64 s[20:21], s[36:37], s[60:61]                 // 0000000077F4: 85943C24
	s_cmp_lt_u32 s83, s66                                      // 0000000077F8: BF0A4253
	s_cselect_b64 s[22:23], s[36:37], s[60:61]                 // 0000000077FC: 85963C24
	s_cmp_lt_u32 s84, s66                                      // 000000007800: BF0A4254
	s_cselect_b64 s[24:25], s[36:37], s[60:61]                 // 000000007804: 85983C24
	s_cmp_lt_u32 s85, s66                                      // 000000007808: BF0A4255
	s_cselect_b64 s[26:27], s[36:37], s[60:61]                 // 00000000780C: 859A3C24
	s_cmp_lt_u32 s86, s66                                      // 000000007810: BF0A4256
	s_cselect_b64 s[28:29], s[36:37], s[60:61]                 // 000000007814: 859C3C24
	s_cmp_lt_u32 s87, s66                                      // 000000007818: BF0A4257
	s_cselect_b64 s[30:31], s[36:37], s[60:61]                 // 00000000781C: 859E3C24
	s_cmp_lt_u32 s88, s66                                      // 000000007820: BF0A4258
	s_cselect_b64 s[32:33], s[36:37], s[60:61]                 // 000000007824: 85A03C24
	s_cmp_lt_u32 s89, s66                                      // 000000007828: BF0A4259
	s_cselect_b64 s[34:35], s[36:37], s[60:61]                 // 00000000782C: 85A23C24
	v_cvt_f32_i32_e32 v128, v128                               // 000000007830: 7F000B80
	v_cvt_f32_i32_e32 v129, v129                               // 000000007834: 7F020B81
	v_cvt_f32_i32_e32 v130, v130                               // 000000007838: 7F040B82
	v_cvt_f32_i32_e32 v131, v131                               // 00000000783C: 7F060B83
	v_mul_f32_e32 v128, v14, v128                              // 000000007840: 0B01010E
	v_mul_f32_e32 v129, v14, v129                              // 000000007844: 0B03030E
	v_mul_f32_e32 v130, v14, v130                              // 000000007848: 0B05050E
	v_mul_f32_e32 v131, v14, v131                              // 00000000784C: 0B07070E
	v_mul_f32_dpp v128, v16, v128 row_newbcast:0 row_mask:0xf bank_mask:0xf// 000000007850: 0B0100FA FF015010
	v_mul_f32_dpp v129, v16, v129 row_newbcast:1 row_mask:0xf bank_mask:0xf// 000000007858: 0B0302FA FF015110
	v_mul_f32_dpp v130, v16, v130 row_newbcast:2 row_mask:0xf bank_mask:0xf// 000000007860: 0B0504FA FF015210
	v_mul_f32_dpp v131, v16, v131 row_newbcast:3 row_mask:0xf bank_mask:0xf// 000000007868: 0B0706FA FF015310
	v_cvt_f32_i32_e32 v132, v132                               // 000000007870: 7F080B84
	v_cvt_f32_i32_e32 v133, v133                               // 000000007874: 7F0A0B85
	v_cvt_f32_i32_e32 v134, v134                               // 000000007878: 7F0C0B86
	v_cvt_f32_i32_e32 v135, v135                               // 00000000787C: 7F0E0B87
	v_mul_f32_e32 v132, v15, v132                              // 000000007880: 0B09090F
	v_mul_f32_e32 v133, v15, v133                              // 000000007884: 0B0B0B0F
	v_mul_f32_e32 v134, v15, v134                              // 000000007888: 0B0D0D0F
	v_mul_f32_e32 v135, v15, v135                              // 00000000788C: 0B0F0F0F
	v_mul_f32_dpp v132, v16, v132 row_newbcast:0 row_mask:0xf bank_mask:0xf// 000000007890: 0B0908FA FF015010
	v_mul_f32_dpp v133, v16, v133 row_newbcast:1 row_mask:0xf bank_mask:0xf// 000000007898: 0B0B0AFA FF015110
	v_mul_f32_dpp v134, v16, v134 row_newbcast:2 row_mask:0xf bank_mask:0xf// 0000000078A0: 0B0D0CFA FF015210
	v_mul_f32_dpp v135, v16, v135 row_newbcast:3 row_mask:0xf bank_mask:0xf// 0000000078A8: 0B0F0EFA FF015310
	v_cvt_f32_i32_e32 v136, v136                               // 0000000078B0: 7F100B88
	v_cvt_f32_i32_e32 v137, v137                               // 0000000078B4: 7F120B89
	v_cvt_f32_i32_e32 v138, v138                               // 0000000078B8: 7F140B8A
	v_cvt_f32_i32_e32 v139, v139                               // 0000000078BC: 7F160B8B
	v_mul_f32_e32 v136, v14, v136                              // 0000000078C0: 0B11110E
	v_mul_f32_e32 v137, v14, v137                              // 0000000078C4: 0B13130E
	v_mul_f32_e32 v138, v14, v138                              // 0000000078C8: 0B15150E
	v_mul_f32_e32 v139, v14, v139                              // 0000000078CC: 0B17170E
	v_mul_f32_dpp v136, v16, v136 row_newbcast:4 row_mask:0xf bank_mask:0xf// 0000000078D0: 0B1110FA FF015410
	v_mul_f32_dpp v137, v16, v137 row_newbcast:5 row_mask:0xf bank_mask:0xf// 0000000078D8: 0B1312FA FF015510
	v_mul_f32_dpp v138, v16, v138 row_newbcast:6 row_mask:0xf bank_mask:0xf// 0000000078E0: 0B1514FA FF015610
	v_mul_f32_dpp v139, v16, v139 row_newbcast:7 row_mask:0xf bank_mask:0xf// 0000000078E8: 0B1716FA FF015710
	v_cvt_f32_i32_e32 v140, v140                               // 0000000078F0: 7F180B8C
	v_cvt_f32_i32_e32 v141, v141                               // 0000000078F4: 7F1A0B8D
	v_cvt_f32_i32_e32 v142, v142                               // 0000000078F8: 7F1C0B8E
	v_cvt_f32_i32_e32 v143, v143                               // 0000000078FC: 7F1E0B8F
	v_mul_f32_e32 v140, v15, v140                              // 000000007900: 0B19190F
	v_mul_f32_e32 v141, v15, v141                              // 000000007904: 0B1B1B0F
	v_mul_f32_e32 v142, v15, v142                              // 000000007908: 0B1D1D0F
	v_mul_f32_e32 v143, v15, v143                              // 00000000790C: 0B1F1F0F
	v_mul_f32_dpp v140, v16, v140 row_newbcast:4 row_mask:0xf bank_mask:0xf// 000000007910: 0B1918FA FF015410
	v_mul_f32_dpp v141, v16, v141 row_newbcast:5 row_mask:0xf bank_mask:0xf// 000000007918: 0B1B1AFA FF015510
	v_mul_f32_dpp v142, v16, v142 row_newbcast:6 row_mask:0xf bank_mask:0xf// 000000007920: 0B1D1CFA FF015610
	v_mul_f32_dpp v143, v16, v143 row_newbcast:7 row_mask:0xf bank_mask:0xf// 000000007928: 0B1F1EFA FF015710
	v_cvt_f32_i32_e32 v144, v144                               // 000000007930: 7F200B90
	v_cvt_f32_i32_e32 v145, v145                               // 000000007934: 7F220B91
	v_cvt_f32_i32_e32 v146, v146                               // 000000007938: 7F240B92
	v_cvt_f32_i32_e32 v147, v147                               // 00000000793C: 7F260B93
	v_mul_f32_e32 v144, v14, v144                              // 000000007940: 0B21210E
	v_mul_f32_e32 v145, v14, v145                              // 000000007944: 0B23230E
	v_mul_f32_e32 v146, v14, v146                              // 000000007948: 0B25250E
	v_mul_f32_e32 v147, v14, v147                              // 00000000794C: 0B27270E
	v_mul_f32_dpp v144, v16, v144 row_newbcast:8 row_mask:0xf bank_mask:0xf// 000000007950: 0B2120FA FF015810
	v_mul_f32_dpp v145, v16, v145 row_newbcast:9 row_mask:0xf bank_mask:0xf// 000000007958: 0B2322FA FF015910
	v_mul_f32_dpp v146, v16, v146 row_newbcast:10 row_mask:0xf bank_mask:0xf// 000000007960: 0B2524FA FF015A10
	v_mul_f32_dpp v147, v16, v147 row_newbcast:11 row_mask:0xf bank_mask:0xf// 000000007968: 0B2726FA FF015B10
	v_cvt_f32_i32_e32 v148, v148                               // 000000007970: 7F280B94
	v_cvt_f32_i32_e32 v149, v149                               // 000000007974: 7F2A0B95
	v_cvt_f32_i32_e32 v150, v150                               // 000000007978: 7F2C0B96
	v_cvt_f32_i32_e32 v151, v151                               // 00000000797C: 7F2E0B97
	v_mul_f32_e32 v148, v15, v148                              // 000000007980: 0B29290F
	v_mul_f32_e32 v149, v15, v149                              // 000000007984: 0B2B2B0F
	v_mul_f32_e32 v150, v15, v150                              // 000000007988: 0B2D2D0F
	v_mul_f32_e32 v151, v15, v151                              // 00000000798C: 0B2F2F0F
	v_mul_f32_dpp v148, v16, v148 row_newbcast:8 row_mask:0xf bank_mask:0xf// 000000007990: 0B2928FA FF015810
	v_mul_f32_dpp v149, v16, v149 row_newbcast:9 row_mask:0xf bank_mask:0xf// 000000007998: 0B2B2AFA FF015910
	v_mul_f32_dpp v150, v16, v150 row_newbcast:10 row_mask:0xf bank_mask:0xf// 0000000079A0: 0B2D2CFA FF015A10
	v_mul_f32_dpp v151, v16, v151 row_newbcast:11 row_mask:0xf bank_mask:0xf// 0000000079A8: 0B2F2EFA FF015B10
	v_cvt_f32_i32_e32 v152, v152                               // 0000000079B0: 7F300B98
	v_cvt_f32_i32_e32 v153, v153                               // 0000000079B4: 7F320B99
	v_cvt_f32_i32_e32 v154, v154                               // 0000000079B8: 7F340B9A
	v_cvt_f32_i32_e32 v155, v155                               // 0000000079BC: 7F360B9B
	v_mul_f32_e32 v152, v14, v152                              // 0000000079C0: 0B31310E
	v_mul_f32_e32 v153, v14, v153                              // 0000000079C4: 0B33330E
	v_mul_f32_e32 v154, v14, v154                              // 0000000079C8: 0B35350E
	v_mul_f32_e32 v155, v14, v155                              // 0000000079CC: 0B37370E
	v_mul_f32_dpp v152, v16, v152 row_newbcast:12 row_mask:0xf bank_mask:0xf// 0000000079D0: 0B3130FA FF015C10
	v_mul_f32_dpp v153, v16, v153 row_newbcast:13 row_mask:0xf bank_mask:0xf// 0000000079D8: 0B3332FA FF015D10
	v_mul_f32_dpp v154, v16, v154 row_newbcast:14 row_mask:0xf bank_mask:0xf// 0000000079E0: 0B3534FA FF015E10
	v_mul_f32_dpp v155, v16, v155 row_newbcast:15 row_mask:0xf bank_mask:0xf// 0000000079E8: 0B3736FA FF015F10
	v_cvt_f32_i32_e32 v156, v156                               // 0000000079F0: 7F380B9C
	v_cvt_f32_i32_e32 v157, v157                               // 0000000079F4: 7F3A0B9D
	v_cvt_f32_i32_e32 v158, v158                               // 0000000079F8: 7F3C0B9E
	v_cvt_f32_i32_e32 v159, v159                               // 0000000079FC: 7F3E0B9F
	v_mul_f32_e32 v156, v15, v156                              // 000000007A00: 0B39390F
	v_mul_f32_e32 v157, v15, v157                              // 000000007A04: 0B3B3B0F
	v_mul_f32_e32 v158, v15, v158                              // 000000007A08: 0B3D3D0F
	v_mul_f32_e32 v159, v15, v159                              // 000000007A0C: 0B3F3F0F
	v_mul_f32_dpp v156, v16, v156 row_newbcast:12 row_mask:0xf bank_mask:0xf// 000000007A10: 0B3938FA FF015C10
	v_mul_f32_dpp v157, v16, v157 row_newbcast:13 row_mask:0xf bank_mask:0xf// 000000007A18: 0B3B3AFA FF015D10
	v_mul_f32_dpp v158, v16, v158 row_newbcast:14 row_mask:0xf bank_mask:0xf// 000000007A20: 0B3D3CFA FF015E10
	v_mul_f32_dpp v159, v16, v159 row_newbcast:15 row_mask:0xf bank_mask:0xf// 000000007A28: 0B3F3EFA FF015F10
	v_cvt_f32_i32_e32 v160, v160                               // 000000007A30: 7F400BA0
	v_cvt_f32_i32_e32 v161, v161                               // 000000007A34: 7F420BA1
	v_cvt_f32_i32_e32 v162, v162                               // 000000007A38: 7F440BA2
	v_cvt_f32_i32_e32 v163, v163                               // 000000007A3C: 7F460BA3
	v_mul_f32_e32 v160, v14, v160                              // 000000007A40: 0B41410E
	v_mul_f32_e32 v161, v14, v161                              // 000000007A44: 0B43430E
	v_mul_f32_e32 v162, v14, v162                              // 000000007A48: 0B45450E
	v_mul_f32_e32 v163, v14, v163                              // 000000007A4C: 0B47470E
	v_mul_f32_dpp v160, v17, v160 row_newbcast:0 row_mask:0xf bank_mask:0xf// 000000007A50: 0B4140FA FF015011
	v_mul_f32_dpp v161, v17, v161 row_newbcast:1 row_mask:0xf bank_mask:0xf// 000000007A58: 0B4342FA FF015111
	v_mul_f32_dpp v162, v17, v162 row_newbcast:2 row_mask:0xf bank_mask:0xf// 000000007A60: 0B4544FA FF015211
	v_mul_f32_dpp v163, v17, v163 row_newbcast:3 row_mask:0xf bank_mask:0xf// 000000007A68: 0B4746FA FF015311
	v_cvt_f32_i32_e32 v164, v164                               // 000000007A70: 7F480BA4
	v_cvt_f32_i32_e32 v165, v165                               // 000000007A74: 7F4A0BA5
	v_cvt_f32_i32_e32 v166, v166                               // 000000007A78: 7F4C0BA6
	v_cvt_f32_i32_e32 v167, v167                               // 000000007A7C: 7F4E0BA7
	v_mul_f32_e32 v164, v15, v164                              // 000000007A80: 0B49490F
	v_mul_f32_e32 v165, v15, v165                              // 000000007A84: 0B4B4B0F
	v_mul_f32_e32 v166, v15, v166                              // 000000007A88: 0B4D4D0F
	v_mul_f32_e32 v167, v15, v167                              // 000000007A8C: 0B4F4F0F
	v_mul_f32_dpp v164, v17, v164 row_newbcast:0 row_mask:0xf bank_mask:0xf// 000000007A90: 0B4948FA FF015011
	v_mul_f32_dpp v165, v17, v165 row_newbcast:1 row_mask:0xf bank_mask:0xf// 000000007A98: 0B4B4AFA FF015111
	v_mul_f32_dpp v166, v17, v166 row_newbcast:2 row_mask:0xf bank_mask:0xf// 000000007AA0: 0B4D4CFA FF015211
	v_mul_f32_dpp v167, v17, v167 row_newbcast:3 row_mask:0xf bank_mask:0xf// 000000007AA8: 0B4F4EFA FF015311
	v_cvt_f32_i32_e32 v168, v168                               // 000000007AB0: 7F500BA8
	v_cvt_f32_i32_e32 v169, v169                               // 000000007AB4: 7F520BA9
	v_cvt_f32_i32_e32 v170, v170                               // 000000007AB8: 7F540BAA
	v_cvt_f32_i32_e32 v171, v171                               // 000000007ABC: 7F560BAB
	v_mul_f32_e32 v168, v14, v168                              // 000000007AC0: 0B51510E
	v_mul_f32_e32 v169, v14, v169                              // 000000007AC4: 0B53530E
	v_mul_f32_e32 v170, v14, v170                              // 000000007AC8: 0B55550E
	v_mul_f32_e32 v171, v14, v171                              // 000000007ACC: 0B57570E
	v_mul_f32_dpp v168, v17, v168 row_newbcast:4 row_mask:0xf bank_mask:0xf// 000000007AD0: 0B5150FA FF015411
	v_mul_f32_dpp v169, v17, v169 row_newbcast:5 row_mask:0xf bank_mask:0xf// 000000007AD8: 0B5352FA FF015511
	v_mul_f32_dpp v170, v17, v170 row_newbcast:6 row_mask:0xf bank_mask:0xf// 000000007AE0: 0B5554FA FF015611
	v_mul_f32_dpp v171, v17, v171 row_newbcast:7 row_mask:0xf bank_mask:0xf// 000000007AE8: 0B5756FA FF015711
	v_cvt_f32_i32_e32 v172, v172                               // 000000007AF0: 7F580BAC
	v_cvt_f32_i32_e32 v173, v173                               // 000000007AF4: 7F5A0BAD
	v_cvt_f32_i32_e32 v174, v174                               // 000000007AF8: 7F5C0BAE
	v_cvt_f32_i32_e32 v175, v175                               // 000000007AFC: 7F5E0BAF
	v_mul_f32_e32 v172, v15, v172                              // 000000007B00: 0B59590F
	v_mul_f32_e32 v173, v15, v173                              // 000000007B04: 0B5B5B0F
	v_mul_f32_e32 v174, v15, v174                              // 000000007B08: 0B5D5D0F
	v_mul_f32_e32 v175, v15, v175                              // 000000007B0C: 0B5F5F0F
	v_mul_f32_dpp v172, v17, v172 row_newbcast:4 row_mask:0xf bank_mask:0xf// 000000007B10: 0B5958FA FF015411
	v_mul_f32_dpp v173, v17, v173 row_newbcast:5 row_mask:0xf bank_mask:0xf// 000000007B18: 0B5B5AFA FF015511
	v_mul_f32_dpp v174, v17, v174 row_newbcast:6 row_mask:0xf bank_mask:0xf// 000000007B20: 0B5D5CFA FF015611
	v_mul_f32_dpp v175, v17, v175 row_newbcast:7 row_mask:0xf bank_mask:0xf// 000000007B28: 0B5F5EFA FF015711
	s_waitcnt vmcnt(20)                                        // 000000007B30: BF8C4F74
	buffer_load_dwordx4 a[0:3], v40, s[12:15], 0 offen         // 000000007B34: E05C1000 80830028
	v_mul_f32_e32 v48, v128, v128                              // 000000007B3C: 0A610180
	v_mul_f32_e32 v49, v129, v129                              // 000000007B40: 0A630381
	v_mul_f32_e32 v50, v130, v130                              // 000000007B44: 0A650582
	v_mul_f32_e32 v51, v131, v131                              // 000000007B48: 0A670783
	v_fma_f32 v48, v48, s77, v1                                // 000000007B4C: D1CB0030 04049B30
	v_fma_f32 v49, v49, s77, v1                                // 000000007B54: D1CB0031 04049B31
	v_fma_f32 v50, v50, s77, v1                                // 000000007B5C: D1CB0032 04049B32
	v_fma_f32 v51, v51, s77, v1                                // 000000007B64: D1CB0033 04049B33
	v_mul_f32_e32 v48, v48, v128                               // 000000007B6C: 0A610130
	v_mul_f32_e32 v49, v49, v129                               // 000000007B70: 0A630331
	v_mul_f32_e32 v50, v50, v130                               // 000000007B74: 0A650532
	v_mul_f32_e32 v51, v51, v131                               // 000000007B78: 0A670733
	v_mul_f32_e64 v48, v48, s6                                 // 000000007B7C: D1050030 00000D30
	v_mul_f32_e64 v49, v49, s6                                 // 000000007B84: D1050031 00000D31
	v_mul_f32_e64 v50, v50, s6                                 // 000000007B8C: D1050032 00000D32
	v_mul_f32_e64 v51, v51, s6                                 // 000000007B94: D1050033 00000D33
	v_exp_f32_e32 v48, v48                                     // 000000007B9C: 7E604130
	v_exp_f32_e32 v49, v49                                     // 000000007BA0: 7E624131
	v_exp_f32_e32 v50, v50                                     // 000000007BA4: 7E644132
	v_exp_f32_e32 v51, v51                                     // 000000007BA8: 7E664133
	buffer_load_dwordx4 a[4:7], v41, s[12:15], 0 offen         // 000000007BAC: E05C1000 80830429
	v_add_f32_e64 v48, v48, 1.0                                // 000000007BB4: D1010030 0001E530
	v_add_f32_e64 v49, v49, 1.0                                // 000000007BBC: D1010031 0001E531
	v_add_f32_e64 v50, v50, 1.0                                // 000000007BC4: D1010032 0001E532
	v_add_f32_e64 v51, v51, 1.0                                // 000000007BCC: D1010033 0001E533
	v_rcp_f32_e32 v48, v48                                     // 000000007BD4: 7E604530
	v_rcp_f32_e32 v49, v49                                     // 000000007BD8: 7E624531
	v_rcp_f32_e32 v50, v50                                     // 000000007BDC: 7E644532
	v_rcp_f32_e32 v51, v51                                     // 000000007BE0: 7E664533
	v_mul_f32_e32 v128, v128, v48                              // 000000007BE4: 0B006180
	v_mul_f32_e32 v129, v129, v49                              // 000000007BE8: 0B026381
	v_mul_f32_e32 v130, v130, v50                              // 000000007BEC: 0B046582
	v_mul_f32_e32 v131, v131, v51                              // 000000007BF0: 0B066783
	buffer_load_dwordx4 a[8:11], v42, s[12:15], 0 offen        // 000000007BF4: E05C1000 8083082A
	v_mul_f32_e32 v48, v132, v132                              // 000000007BFC: 0A610984
	v_mul_f32_e32 v49, v133, v133                              // 000000007C00: 0A630B85
	v_mul_f32_e32 v50, v134, v134                              // 000000007C04: 0A650D86
	v_mul_f32_e32 v51, v135, v135                              // 000000007C08: 0A670F87
	v_fma_f32 v48, v48, s77, v1                                // 000000007C0C: D1CB0030 04049B30
	v_fma_f32 v49, v49, s77, v1                                // 000000007C14: D1CB0031 04049B31
	v_fma_f32 v50, v50, s77, v1                                // 000000007C1C: D1CB0032 04049B32
	v_fma_f32 v51, v51, s77, v1                                // 000000007C24: D1CB0033 04049B33
	v_mul_f32_e32 v48, v48, v132                               // 000000007C2C: 0A610930
	v_mul_f32_e32 v49, v49, v133                               // 000000007C30: 0A630B31
	v_mul_f32_e32 v50, v50, v134                               // 000000007C34: 0A650D32
	v_mul_f32_e32 v51, v51, v135                               // 000000007C38: 0A670F33
	v_mul_f32_e64 v48, v48, s6                                 // 000000007C3C: D1050030 00000D30
	v_mul_f32_e64 v49, v49, s6                                 // 000000007C44: D1050031 00000D31
	v_mul_f32_e64 v50, v50, s6                                 // 000000007C4C: D1050032 00000D32
	v_mul_f32_e64 v51, v51, s6                                 // 000000007C54: D1050033 00000D33
	v_exp_f32_e32 v48, v48                                     // 000000007C5C: 7E604130
	v_exp_f32_e32 v49, v49                                     // 000000007C60: 7E624131
	v_exp_f32_e32 v50, v50                                     // 000000007C64: 7E644132
	v_exp_f32_e32 v51, v51                                     // 000000007C68: 7E664133
	buffer_load_dwordx4 a[12:15], v43, s[12:15], 0 offen       // 000000007C6C: E05C1000 80830C2B
	s_add_u32 s12, s78, s12                                    // 000000007C74: 800C0C4E
	s_addc_u32 s13, 0, s13                                     // 000000007C78: 820D0D80
	v_add_f32_e64 v48, v48, 1.0                                // 000000007C7C: D1010030 0001E530
	v_add_f32_e64 v49, v49, 1.0                                // 000000007C84: D1010031 0001E531
	v_add_f32_e64 v50, v50, 1.0                                // 000000007C8C: D1010032 0001E532
	v_add_f32_e64 v51, v51, 1.0                                // 000000007C94: D1010033 0001E533
	v_rcp_f32_e32 v48, v48                                     // 000000007C9C: 7E604530
	v_rcp_f32_e32 v49, v49                                     // 000000007CA0: 7E624531
	v_rcp_f32_e32 v50, v50                                     // 000000007CA4: 7E644532
	v_rcp_f32_e32 v51, v51                                     // 000000007CA8: 7E664533
	v_mul_f32_e32 v132, v132, v48                              // 000000007CAC: 0B086184
	v_mul_f32_e32 v133, v133, v49                              // 000000007CB0: 0B0A6385
	v_mul_f32_e32 v134, v134, v50                              // 000000007CB4: 0B0C6586
	v_mul_f32_e32 v135, v135, v51                              // 000000007CB8: 0B0E6787
	s_waitcnt vmcnt(20)                                        // 000000007CBC: BF8C4F74
	buffer_load_dwordx4 a[16:19], v40, s[12:15], 0 offen       // 000000007CC0: E05C1000 80831028
	v_mul_f32_e32 v48, v136, v136                              // 000000007CC8: 0A611188
	v_mul_f32_e32 v49, v137, v137                              // 000000007CCC: 0A631389
	v_mul_f32_e32 v50, v138, v138                              // 000000007CD0: 0A65158A
	v_mul_f32_e32 v51, v139, v139                              // 000000007CD4: 0A67178B
	v_fma_f32 v48, v48, s77, v1                                // 000000007CD8: D1CB0030 04049B30
	v_fma_f32 v49, v49, s77, v1                                // 000000007CE0: D1CB0031 04049B31
	v_fma_f32 v50, v50, s77, v1                                // 000000007CE8: D1CB0032 04049B32
	v_fma_f32 v51, v51, s77, v1                                // 000000007CF0: D1CB0033 04049B33
	v_mul_f32_e32 v48, v48, v136                               // 000000007CF8: 0A611130
	v_mul_f32_e32 v49, v49, v137                               // 000000007CFC: 0A631331
	v_mul_f32_e32 v50, v50, v138                               // 000000007D00: 0A651532
	v_mul_f32_e32 v51, v51, v139                               // 000000007D04: 0A671733
	v_mul_f32_e64 v48, v48, s6                                 // 000000007D08: D1050030 00000D30
	v_mul_f32_e64 v49, v49, s6                                 // 000000007D10: D1050031 00000D31
	v_mul_f32_e64 v50, v50, s6                                 // 000000007D18: D1050032 00000D32
	v_mul_f32_e64 v51, v51, s6                                 // 000000007D20: D1050033 00000D33
	v_exp_f32_e32 v48, v48                                     // 000000007D28: 7E604130
	v_exp_f32_e32 v49, v49                                     // 000000007D2C: 7E624131
	v_exp_f32_e32 v50, v50                                     // 000000007D30: 7E644132
	v_exp_f32_e32 v51, v51                                     // 000000007D34: 7E664133
	buffer_load_dwordx4 a[20:23], v41, s[12:15], 0 offen       // 000000007D38: E05C1000 80831429
	v_add_f32_e64 v48, v48, 1.0                                // 000000007D40: D1010030 0001E530
	v_add_f32_e64 v49, v49, 1.0                                // 000000007D48: D1010031 0001E531
	v_add_f32_e64 v50, v50, 1.0                                // 000000007D50: D1010032 0001E532
	v_add_f32_e64 v51, v51, 1.0                                // 000000007D58: D1010033 0001E533
	v_rcp_f32_e32 v48, v48                                     // 000000007D60: 7E604530
	v_rcp_f32_e32 v49, v49                                     // 000000007D64: 7E624531
	v_rcp_f32_e32 v50, v50                                     // 000000007D68: 7E644532
	v_rcp_f32_e32 v51, v51                                     // 000000007D6C: 7E664533
	v_mul_f32_e32 v136, v136, v48                              // 000000007D70: 0B106188
	v_mul_f32_e32 v137, v137, v49                              // 000000007D74: 0B126389
	v_mul_f32_e32 v138, v138, v50                              // 000000007D78: 0B14658A
	v_mul_f32_e32 v139, v139, v51                              // 000000007D7C: 0B16678B
	buffer_load_dwordx4 a[24:27], v42, s[12:15], 0 offen       // 000000007D80: E05C1000 8083182A
	v_mul_f32_e32 v48, v140, v140                              // 000000007D88: 0A61198C
	v_mul_f32_e32 v49, v141, v141                              // 000000007D8C: 0A631B8D
	v_mul_f32_e32 v50, v142, v142                              // 000000007D90: 0A651D8E
	v_mul_f32_e32 v51, v143, v143                              // 000000007D94: 0A671F8F
	v_fma_f32 v48, v48, s77, v1                                // 000000007D98: D1CB0030 04049B30
	v_fma_f32 v49, v49, s77, v1                                // 000000007DA0: D1CB0031 04049B31
	v_fma_f32 v50, v50, s77, v1                                // 000000007DA8: D1CB0032 04049B32
	v_fma_f32 v51, v51, s77, v1                                // 000000007DB0: D1CB0033 04049B33
	v_mul_f32_e32 v48, v48, v140                               // 000000007DB8: 0A611930
	v_mul_f32_e32 v49, v49, v141                               // 000000007DBC: 0A631B31
	v_mul_f32_e32 v50, v50, v142                               // 000000007DC0: 0A651D32
	v_mul_f32_e32 v51, v51, v143                               // 000000007DC4: 0A671F33
	v_mul_f32_e64 v48, v48, s6                                 // 000000007DC8: D1050030 00000D30
	v_mul_f32_e64 v49, v49, s6                                 // 000000007DD0: D1050031 00000D31
	v_mul_f32_e64 v50, v50, s6                                 // 000000007DD8: D1050032 00000D32
	v_mul_f32_e64 v51, v51, s6                                 // 000000007DE0: D1050033 00000D33
	v_exp_f32_e32 v48, v48                                     // 000000007DE8: 7E604130
	v_exp_f32_e32 v49, v49                                     // 000000007DEC: 7E624131
	v_exp_f32_e32 v50, v50                                     // 000000007DF0: 7E644132
	v_exp_f32_e32 v51, v51                                     // 000000007DF4: 7E664133
	buffer_load_dwordx4 a[28:31], v43, s[12:15], 0 offen       // 000000007DF8: E05C1000 80831C2B
	s_add_u32 s12, s78, s12                                    // 000000007E00: 800C0C4E
	s_addc_u32 s13, 0, s13                                     // 000000007E04: 820D0D80
	v_add_f32_e64 v48, v48, 1.0                                // 000000007E08: D1010030 0001E530
	v_add_f32_e64 v49, v49, 1.0                                // 000000007E10: D1010031 0001E531
	v_add_f32_e64 v50, v50, 1.0                                // 000000007E18: D1010032 0001E532
	v_add_f32_e64 v51, v51, 1.0                                // 000000007E20: D1010033 0001E533
	v_rcp_f32_e32 v48, v48                                     // 000000007E28: 7E604530
	v_rcp_f32_e32 v49, v49                                     // 000000007E2C: 7E624531
	v_rcp_f32_e32 v50, v50                                     // 000000007E30: 7E644532
	v_rcp_f32_e32 v51, v51                                     // 000000007E34: 7E664533
	v_mul_f32_e32 v140, v140, v48                              // 000000007E38: 0B18618C
	v_mul_f32_e32 v141, v141, v49                              // 000000007E3C: 0B1A638D
	v_mul_f32_e32 v142, v142, v50                              // 000000007E40: 0B1C658E
	v_mul_f32_e32 v143, v143, v51                              // 000000007E44: 0B1E678F
	s_waitcnt vmcnt(20)                                        // 000000007E48: BF8C4F74
	buffer_load_dwordx4 a[32:35], v40, s[12:15], 0 offen       // 000000007E4C: E05C1000 80832028
	v_mul_f32_e32 v48, v144, v144                              // 000000007E54: 0A612190
	v_mul_f32_e32 v49, v145, v145                              // 000000007E58: 0A632391
	v_mul_f32_e32 v50, v146, v146                              // 000000007E5C: 0A652592
	v_mul_f32_e32 v51, v147, v147                              // 000000007E60: 0A672793
	v_fma_f32 v48, v48, s77, v1                                // 000000007E64: D1CB0030 04049B30
	v_fma_f32 v49, v49, s77, v1                                // 000000007E6C: D1CB0031 04049B31
	v_fma_f32 v50, v50, s77, v1                                // 000000007E74: D1CB0032 04049B32
	v_fma_f32 v51, v51, s77, v1                                // 000000007E7C: D1CB0033 04049B33
	v_mul_f32_e32 v48, v48, v144                               // 000000007E84: 0A612130
	v_mul_f32_e32 v49, v49, v145                               // 000000007E88: 0A632331
	v_mul_f32_e32 v50, v50, v146                               // 000000007E8C: 0A652532
	v_mul_f32_e32 v51, v51, v147                               // 000000007E90: 0A672733
	v_mul_f32_e64 v48, v48, s6                                 // 000000007E94: D1050030 00000D30
	v_mul_f32_e64 v49, v49, s6                                 // 000000007E9C: D1050031 00000D31
	v_mul_f32_e64 v50, v50, s6                                 // 000000007EA4: D1050032 00000D32
	v_mul_f32_e64 v51, v51, s6                                 // 000000007EAC: D1050033 00000D33
	v_exp_f32_e32 v48, v48                                     // 000000007EB4: 7E604130
	v_exp_f32_e32 v49, v49                                     // 000000007EB8: 7E624131
	v_exp_f32_e32 v50, v50                                     // 000000007EBC: 7E644132
	v_exp_f32_e32 v51, v51                                     // 000000007EC0: 7E664133
	buffer_load_dwordx4 a[36:39], v41, s[12:15], 0 offen       // 000000007EC4: E05C1000 80832429
	v_add_f32_e64 v48, v48, 1.0                                // 000000007ECC: D1010030 0001E530
	v_add_f32_e64 v49, v49, 1.0                                // 000000007ED4: D1010031 0001E531
	v_add_f32_e64 v50, v50, 1.0                                // 000000007EDC: D1010032 0001E532
	v_add_f32_e64 v51, v51, 1.0                                // 000000007EE4: D1010033 0001E533
	v_rcp_f32_e32 v48, v48                                     // 000000007EEC: 7E604530
	v_rcp_f32_e32 v49, v49                                     // 000000007EF0: 7E624531
	v_rcp_f32_e32 v50, v50                                     // 000000007EF4: 7E644532
	v_rcp_f32_e32 v51, v51                                     // 000000007EF8: 7E664533
	v_mul_f32_e32 v144, v144, v48                              // 000000007EFC: 0B206190
	v_mul_f32_e32 v145, v145, v49                              // 000000007F00: 0B226391
	v_mul_f32_e32 v146, v146, v50                              // 000000007F04: 0B246592
	v_mul_f32_e32 v147, v147, v51                              // 000000007F08: 0B266793
	buffer_load_dwordx4 a[40:43], v42, s[12:15], 0 offen       // 000000007F0C: E05C1000 8083282A
	v_mul_f32_e32 v48, v148, v148                              // 000000007F14: 0A612994
	v_mul_f32_e32 v49, v149, v149                              // 000000007F18: 0A632B95
	v_mul_f32_e32 v50, v150, v150                              // 000000007F1C: 0A652D96
	v_mul_f32_e32 v51, v151, v151                              // 000000007F20: 0A672F97
	v_fma_f32 v48, v48, s77, v1                                // 000000007F24: D1CB0030 04049B30
	v_fma_f32 v49, v49, s77, v1                                // 000000007F2C: D1CB0031 04049B31
	v_fma_f32 v50, v50, s77, v1                                // 000000007F34: D1CB0032 04049B32
	v_fma_f32 v51, v51, s77, v1                                // 000000007F3C: D1CB0033 04049B33
	v_mul_f32_e32 v48, v48, v148                               // 000000007F44: 0A612930
	v_mul_f32_e32 v49, v49, v149                               // 000000007F48: 0A632B31
	v_mul_f32_e32 v50, v50, v150                               // 000000007F4C: 0A652D32
	v_mul_f32_e32 v51, v51, v151                               // 000000007F50: 0A672F33
	v_mul_f32_e64 v48, v48, s6                                 // 000000007F54: D1050030 00000D30
	v_mul_f32_e64 v49, v49, s6                                 // 000000007F5C: D1050031 00000D31
	v_mul_f32_e64 v50, v50, s6                                 // 000000007F64: D1050032 00000D32
	v_mul_f32_e64 v51, v51, s6                                 // 000000007F6C: D1050033 00000D33
	v_exp_f32_e32 v48, v48                                     // 000000007F74: 7E604130
	v_exp_f32_e32 v49, v49                                     // 000000007F78: 7E624131
	v_exp_f32_e32 v50, v50                                     // 000000007F7C: 7E644132
	v_exp_f32_e32 v51, v51                                     // 000000007F80: 7E664133
	buffer_load_dwordx4 a[44:47], v43, s[12:15], 0 offen       // 000000007F84: E05C1000 80832C2B
	s_add_u32 s12, s78, s12                                    // 000000007F8C: 800C0C4E
	s_addc_u32 s13, 0, s13                                     // 000000007F90: 820D0D80
	v_add_f32_e64 v48, v48, 1.0                                // 000000007F94: D1010030 0001E530
	v_add_f32_e64 v49, v49, 1.0                                // 000000007F9C: D1010031 0001E531
	v_add_f32_e64 v50, v50, 1.0                                // 000000007FA4: D1010032 0001E532
	v_add_f32_e64 v51, v51, 1.0                                // 000000007FAC: D1010033 0001E533
	v_rcp_f32_e32 v48, v48                                     // 000000007FB4: 7E604530
	v_rcp_f32_e32 v49, v49                                     // 000000007FB8: 7E624531
	v_rcp_f32_e32 v50, v50                                     // 000000007FBC: 7E644532
	v_rcp_f32_e32 v51, v51                                     // 000000007FC0: 7E664533
	v_mul_f32_e32 v148, v148, v48                              // 000000007FC4: 0B286194
	v_mul_f32_e32 v149, v149, v49                              // 000000007FC8: 0B2A6395
	v_mul_f32_e32 v150, v150, v50                              // 000000007FCC: 0B2C6596
	v_mul_f32_e32 v151, v151, v51                              // 000000007FD0: 0B2E6797
	s_waitcnt vmcnt(20)                                        // 000000007FD4: BF8C4F74
	buffer_load_dwordx4 a[48:51], v40, s[12:15], 0 offen       // 000000007FD8: E05C1000 80833028
	v_mul_f32_e32 v48, v152, v152                              // 000000007FE0: 0A613198
	v_mul_f32_e32 v49, v153, v153                              // 000000007FE4: 0A633399
	v_mul_f32_e32 v50, v154, v154                              // 000000007FE8: 0A65359A
	v_mul_f32_e32 v51, v155, v155                              // 000000007FEC: 0A67379B
	v_fma_f32 v48, v48, s77, v1                                // 000000007FF0: D1CB0030 04049B30
	v_fma_f32 v49, v49, s77, v1                                // 000000007FF8: D1CB0031 04049B31
	v_fma_f32 v50, v50, s77, v1                                // 000000008000: D1CB0032 04049B32
	v_fma_f32 v51, v51, s77, v1                                // 000000008008: D1CB0033 04049B33
	v_mul_f32_e32 v48, v48, v152                               // 000000008010: 0A613130
	v_mul_f32_e32 v49, v49, v153                               // 000000008014: 0A633331
	v_mul_f32_e32 v50, v50, v154                               // 000000008018: 0A653532
	v_mul_f32_e32 v51, v51, v155                               // 00000000801C: 0A673733
	v_mul_f32_e64 v48, v48, s6                                 // 000000008020: D1050030 00000D30
	v_mul_f32_e64 v49, v49, s6                                 // 000000008028: D1050031 00000D31
	v_mul_f32_e64 v50, v50, s6                                 // 000000008030: D1050032 00000D32
	v_mul_f32_e64 v51, v51, s6                                 // 000000008038: D1050033 00000D33
	v_exp_f32_e32 v48, v48                                     // 000000008040: 7E604130
	v_exp_f32_e32 v49, v49                                     // 000000008044: 7E624131
	v_exp_f32_e32 v50, v50                                     // 000000008048: 7E644132
	v_exp_f32_e32 v51, v51                                     // 00000000804C: 7E664133
	buffer_load_dwordx4 a[52:55], v41, s[12:15], 0 offen       // 000000008050: E05C1000 80833429
	v_add_f32_e64 v48, v48, 1.0                                // 000000008058: D1010030 0001E530
	v_add_f32_e64 v49, v49, 1.0                                // 000000008060: D1010031 0001E531
	v_add_f32_e64 v50, v50, 1.0                                // 000000008068: D1010032 0001E532
	v_add_f32_e64 v51, v51, 1.0                                // 000000008070: D1010033 0001E533
	v_rcp_f32_e32 v48, v48                                     // 000000008078: 7E604530
	v_rcp_f32_e32 v49, v49                                     // 00000000807C: 7E624531
	v_rcp_f32_e32 v50, v50                                     // 000000008080: 7E644532
	v_rcp_f32_e32 v51, v51                                     // 000000008084: 7E664533
	v_mul_f32_e32 v152, v152, v48                              // 000000008088: 0B306198
	v_mul_f32_e32 v153, v153, v49                              // 00000000808C: 0B326399
	v_mul_f32_e32 v154, v154, v50                              // 000000008090: 0B34659A
	v_mul_f32_e32 v155, v155, v51                              // 000000008094: 0B36679B
	buffer_load_dwordx4 a[56:59], v42, s[12:15], 0 offen       // 000000008098: E05C1000 8083382A
	v_mul_f32_e32 v48, v156, v156                              // 0000000080A0: 0A61399C
	v_mul_f32_e32 v49, v157, v157                              // 0000000080A4: 0A633B9D
	v_mul_f32_e32 v50, v158, v158                              // 0000000080A8: 0A653D9E
	v_mul_f32_e32 v51, v159, v159                              // 0000000080AC: 0A673F9F
	v_fma_f32 v48, v48, s77, v1                                // 0000000080B0: D1CB0030 04049B30
	v_fma_f32 v49, v49, s77, v1                                // 0000000080B8: D1CB0031 04049B31
	v_fma_f32 v50, v50, s77, v1                                // 0000000080C0: D1CB0032 04049B32
	v_fma_f32 v51, v51, s77, v1                                // 0000000080C8: D1CB0033 04049B33
	v_mul_f32_e32 v48, v48, v156                               // 0000000080D0: 0A613930
	v_mul_f32_e32 v49, v49, v157                               // 0000000080D4: 0A633B31
	v_mul_f32_e32 v50, v50, v158                               // 0000000080D8: 0A653D32
	v_mul_f32_e32 v51, v51, v159                               // 0000000080DC: 0A673F33
	v_mul_f32_e64 v48, v48, s6                                 // 0000000080E0: D1050030 00000D30
	v_mul_f32_e64 v49, v49, s6                                 // 0000000080E8: D1050031 00000D31
	v_mul_f32_e64 v50, v50, s6                                 // 0000000080F0: D1050032 00000D32
	v_mul_f32_e64 v51, v51, s6                                 // 0000000080F8: D1050033 00000D33
	v_exp_f32_e32 v48, v48                                     // 000000008100: 7E604130
	v_exp_f32_e32 v49, v49                                     // 000000008104: 7E624131
	v_exp_f32_e32 v50, v50                                     // 000000008108: 7E644132
	v_exp_f32_e32 v51, v51                                     // 00000000810C: 7E664133
	buffer_load_dwordx4 a[60:63], v43, s[12:15], 0 offen       // 000000008110: E05C1000 80833C2B
	s_add_u32 s12, s78, s12                                    // 000000008118: 800C0C4E
	s_addc_u32 s13, 0, s13                                     // 00000000811C: 820D0D80
	v_add_f32_e64 v48, v48, 1.0                                // 000000008120: D1010030 0001E530
	v_add_f32_e64 v49, v49, 1.0                                // 000000008128: D1010031 0001E531
	v_add_f32_e64 v50, v50, 1.0                                // 000000008130: D1010032 0001E532
	v_add_f32_e64 v51, v51, 1.0                                // 000000008138: D1010033 0001E533
	v_rcp_f32_e32 v48, v48                                     // 000000008140: 7E604530
	v_rcp_f32_e32 v49, v49                                     // 000000008144: 7E624531
	v_rcp_f32_e32 v50, v50                                     // 000000008148: 7E644532
	v_rcp_f32_e32 v51, v51                                     // 00000000814C: 7E664533
	v_mul_f32_e32 v156, v156, v48                              // 000000008150: 0B38619C
	v_mul_f32_e32 v157, v157, v49                              // 000000008154: 0B3A639D
	v_mul_f32_e32 v158, v158, v50                              // 000000008158: 0B3C659E
	v_mul_f32_e32 v159, v159, v51                              // 00000000815C: 0B3E679F
	s_waitcnt vmcnt(20)                                        // 000000008160: BF8C4F74
	buffer_load_dwordx4 a[64:67], v40, s[12:15], 0 offen       // 000000008164: E05C1000 80834028
	v_mul_f32_e32 v48, v160, v160                              // 00000000816C: 0A6141A0
	v_mul_f32_e32 v49, v161, v161                              // 000000008170: 0A6343A1
	v_mul_f32_e32 v50, v162, v162                              // 000000008174: 0A6545A2
	v_mul_f32_e32 v51, v163, v163                              // 000000008178: 0A6747A3
	v_fma_f32 v48, v48, s77, v1                                // 00000000817C: D1CB0030 04049B30
	v_fma_f32 v49, v49, s77, v1                                // 000000008184: D1CB0031 04049B31
	v_fma_f32 v50, v50, s77, v1                                // 00000000818C: D1CB0032 04049B32
	v_fma_f32 v51, v51, s77, v1                                // 000000008194: D1CB0033 04049B33
	v_mul_f32_e32 v48, v48, v160                               // 00000000819C: 0A614130
	v_mul_f32_e32 v49, v49, v161                               // 0000000081A0: 0A634331
	v_mul_f32_e32 v50, v50, v162                               // 0000000081A4: 0A654532
	v_mul_f32_e32 v51, v51, v163                               // 0000000081A8: 0A674733
	v_mul_f32_e64 v48, v48, s6                                 // 0000000081AC: D1050030 00000D30
	v_mul_f32_e64 v49, v49, s6                                 // 0000000081B4: D1050031 00000D31
	v_mul_f32_e64 v50, v50, s6                                 // 0000000081BC: D1050032 00000D32
	v_mul_f32_e64 v51, v51, s6                                 // 0000000081C4: D1050033 00000D33
	v_exp_f32_e32 v48, v48                                     // 0000000081CC: 7E604130
	v_exp_f32_e32 v49, v49                                     // 0000000081D0: 7E624131
	v_exp_f32_e32 v50, v50                                     // 0000000081D4: 7E644132
	v_exp_f32_e32 v51, v51                                     // 0000000081D8: 7E664133
	buffer_load_dwordx4 a[68:71], v41, s[12:15], 0 offen       // 0000000081DC: E05C1000 80834429
	v_add_f32_e64 v48, v48, 1.0                                // 0000000081E4: D1010030 0001E530
	v_add_f32_e64 v49, v49, 1.0                                // 0000000081EC: D1010031 0001E531
	v_add_f32_e64 v50, v50, 1.0                                // 0000000081F4: D1010032 0001E532
	v_add_f32_e64 v51, v51, 1.0                                // 0000000081FC: D1010033 0001E533
	v_rcp_f32_e32 v48, v48                                     // 000000008204: 7E604530
	v_rcp_f32_e32 v49, v49                                     // 000000008208: 7E624531
	v_rcp_f32_e32 v50, v50                                     // 00000000820C: 7E644532
	v_rcp_f32_e32 v51, v51                                     // 000000008210: 7E664533
	v_mul_f32_e32 v160, v160, v48                              // 000000008214: 0B4061A0
	v_mul_f32_e32 v161, v161, v49                              // 000000008218: 0B4263A1
	v_mul_f32_e32 v162, v162, v50                              // 00000000821C: 0B4465A2
	v_mul_f32_e32 v163, v163, v51                              // 000000008220: 0B4667A3
	buffer_load_dwordx4 a[72:75], v42, s[12:15], 0 offen       // 000000008224: E05C1000 8083482A
	v_mul_f32_e32 v48, v164, v164                              // 00000000822C: 0A6149A4
	v_mul_f32_e32 v49, v165, v165                              // 000000008230: 0A634BA5
	v_mul_f32_e32 v50, v166, v166                              // 000000008234: 0A654DA6
	v_mul_f32_e32 v51, v167, v167                              // 000000008238: 0A674FA7
	v_fma_f32 v48, v48, s77, v1                                // 00000000823C: D1CB0030 04049B30
	v_fma_f32 v49, v49, s77, v1                                // 000000008244: D1CB0031 04049B31
	v_fma_f32 v50, v50, s77, v1                                // 00000000824C: D1CB0032 04049B32
	v_fma_f32 v51, v51, s77, v1                                // 000000008254: D1CB0033 04049B33
	v_mul_f32_e32 v48, v48, v164                               // 00000000825C: 0A614930
	v_mul_f32_e32 v49, v49, v165                               // 000000008260: 0A634B31
	v_mul_f32_e32 v50, v50, v166                               // 000000008264: 0A654D32
	v_mul_f32_e32 v51, v51, v167                               // 000000008268: 0A674F33
	v_mul_f32_e64 v48, v48, s6                                 // 00000000826C: D1050030 00000D30
	v_mul_f32_e64 v49, v49, s6                                 // 000000008274: D1050031 00000D31
	v_mul_f32_e64 v50, v50, s6                                 // 00000000827C: D1050032 00000D32
	v_mul_f32_e64 v51, v51, s6                                 // 000000008284: D1050033 00000D33
	v_exp_f32_e32 v48, v48                                     // 00000000828C: 7E604130
	v_exp_f32_e32 v49, v49                                     // 000000008290: 7E624131
	v_exp_f32_e32 v50, v50                                     // 000000008294: 7E644132
	v_exp_f32_e32 v51, v51                                     // 000000008298: 7E664133
	buffer_load_dwordx4 a[76:79], v43, s[12:15], 0 offen       // 00000000829C: E05C1000 80834C2B
	s_add_u32 s12, s78, s12                                    // 0000000082A4: 800C0C4E
	s_addc_u32 s13, 0, s13                                     // 0000000082A8: 820D0D80
	v_add_f32_e64 v48, v48, 1.0                                // 0000000082AC: D1010030 0001E530
	v_add_f32_e64 v49, v49, 1.0                                // 0000000082B4: D1010031 0001E531
	v_add_f32_e64 v50, v50, 1.0                                // 0000000082BC: D1010032 0001E532
	v_add_f32_e64 v51, v51, 1.0                                // 0000000082C4: D1010033 0001E533
	v_rcp_f32_e32 v48, v48                                     // 0000000082CC: 7E604530
	v_rcp_f32_e32 v49, v49                                     // 0000000082D0: 7E624531
	v_rcp_f32_e32 v50, v50                                     // 0000000082D4: 7E644532
	v_rcp_f32_e32 v51, v51                                     // 0000000082D8: 7E664533
	v_mul_f32_e32 v164, v164, v48                              // 0000000082DC: 0B4861A4
	v_mul_f32_e32 v165, v165, v49                              // 0000000082E0: 0B4A63A5
	v_mul_f32_e32 v166, v166, v50                              // 0000000082E4: 0B4C65A6
	v_mul_f32_e32 v167, v167, v51                              // 0000000082E8: 0B4E67A7
	s_waitcnt vmcnt(20)                                        // 0000000082EC: BF8C4F74
	buffer_load_dwordx4 a[80:83], v40, s[12:15], 0 offen       // 0000000082F0: E05C1000 80835028
	v_mul_f32_e32 v48, v168, v168                              // 0000000082F8: 0A6151A8
	v_mul_f32_e32 v49, v169, v169                              // 0000000082FC: 0A6353A9
	v_mul_f32_e32 v50, v170, v170                              // 000000008300: 0A6555AA
	v_mul_f32_e32 v51, v171, v171                              // 000000008304: 0A6757AB
	v_fma_f32 v48, v48, s77, v1                                // 000000008308: D1CB0030 04049B30
	v_fma_f32 v49, v49, s77, v1                                // 000000008310: D1CB0031 04049B31
	v_fma_f32 v50, v50, s77, v1                                // 000000008318: D1CB0032 04049B32
	v_fma_f32 v51, v51, s77, v1                                // 000000008320: D1CB0033 04049B33
	v_mul_f32_e32 v48, v48, v168                               // 000000008328: 0A615130
	v_mul_f32_e32 v49, v49, v169                               // 00000000832C: 0A635331
	v_mul_f32_e32 v50, v50, v170                               // 000000008330: 0A655532
	v_mul_f32_e32 v51, v51, v171                               // 000000008334: 0A675733
	v_mul_f32_e64 v48, v48, s6                                 // 000000008338: D1050030 00000D30
	v_mul_f32_e64 v49, v49, s6                                 // 000000008340: D1050031 00000D31
	v_mul_f32_e64 v50, v50, s6                                 // 000000008348: D1050032 00000D32
	v_mul_f32_e64 v51, v51, s6                                 // 000000008350: D1050033 00000D33
	v_exp_f32_e32 v48, v48                                     // 000000008358: 7E604130
	v_exp_f32_e32 v49, v49                                     // 00000000835C: 7E624131
	v_exp_f32_e32 v50, v50                                     // 000000008360: 7E644132
	v_exp_f32_e32 v51, v51                                     // 000000008364: 7E664133
	buffer_load_dwordx4 a[84:87], v41, s[12:15], 0 offen       // 000000008368: E05C1000 80835429
	v_add_f32_e64 v48, v48, 1.0                                // 000000008370: D1010030 0001E530
	v_add_f32_e64 v49, v49, 1.0                                // 000000008378: D1010031 0001E531
	v_add_f32_e64 v50, v50, 1.0                                // 000000008380: D1010032 0001E532
	v_add_f32_e64 v51, v51, 1.0                                // 000000008388: D1010033 0001E533
	v_rcp_f32_e32 v48, v48                                     // 000000008390: 7E604530
	v_rcp_f32_e32 v49, v49                                     // 000000008394: 7E624531
	v_rcp_f32_e32 v50, v50                                     // 000000008398: 7E644532
	v_rcp_f32_e32 v51, v51                                     // 00000000839C: 7E664533
	v_mul_f32_e32 v168, v168, v48                              // 0000000083A0: 0B5061A8
	v_mul_f32_e32 v169, v169, v49                              // 0000000083A4: 0B5263A9
	v_mul_f32_e32 v170, v170, v50                              // 0000000083A8: 0B5465AA
	v_mul_f32_e32 v171, v171, v51                              // 0000000083AC: 0B5667AB
	buffer_load_dwordx4 a[88:91], v42, s[12:15], 0 offen       // 0000000083B0: E05C1000 8083582A
	v_mul_f32_e32 v48, v172, v172                              // 0000000083B8: 0A6159AC
	v_mul_f32_e32 v49, v173, v173                              // 0000000083BC: 0A635BAD
	v_mul_f32_e32 v50, v174, v174                              // 0000000083C0: 0A655DAE
	v_mul_f32_e32 v51, v175, v175                              // 0000000083C4: 0A675FAF
	v_fma_f32 v48, v48, s77, v1                                // 0000000083C8: D1CB0030 04049B30
	v_fma_f32 v49, v49, s77, v1                                // 0000000083D0: D1CB0031 04049B31
	v_fma_f32 v50, v50, s77, v1                                // 0000000083D8: D1CB0032 04049B32
	v_fma_f32 v51, v51, s77, v1                                // 0000000083E0: D1CB0033 04049B33
	v_mul_f32_e32 v48, v48, v172                               // 0000000083E8: 0A615930
	v_mul_f32_e32 v49, v49, v173                               // 0000000083EC: 0A635B31
	v_mul_f32_e32 v50, v50, v174                               // 0000000083F0: 0A655D32
	v_mul_f32_e32 v51, v51, v175                               // 0000000083F4: 0A675F33
	v_mul_f32_e64 v48, v48, s6                                 // 0000000083F8: D1050030 00000D30
	v_mul_f32_e64 v49, v49, s6                                 // 000000008400: D1050031 00000D31
	v_mul_f32_e64 v50, v50, s6                                 // 000000008408: D1050032 00000D32
	v_mul_f32_e64 v51, v51, s6                                 // 000000008410: D1050033 00000D33
	v_exp_f32_e32 v48, v48                                     // 000000008418: 7E604130
	v_exp_f32_e32 v49, v49                                     // 00000000841C: 7E624131
	v_exp_f32_e32 v50, v50                                     // 000000008420: 7E644132
	v_exp_f32_e32 v51, v51                                     // 000000008424: 7E664133
	buffer_load_dwordx4 a[92:95], v43, s[12:15], 0 offen       // 000000008428: E05C1000 80835C2B
	v_add_f32_e64 v48, v48, 1.0                                // 000000008430: D1010030 0001E530
	v_add_f32_e64 v49, v49, 1.0                                // 000000008438: D1010031 0001E531
	v_add_f32_e64 v50, v50, 1.0                                // 000000008440: D1010032 0001E532
	v_add_f32_e64 v51, v51, 1.0                                // 000000008448: D1010033 0001E533
	v_rcp_f32_e32 v48, v48                                     // 000000008450: 7E604530
	v_rcp_f32_e32 v49, v49                                     // 000000008454: 7E624531
	v_rcp_f32_e32 v50, v50                                     // 000000008458: 7E644532
	v_rcp_f32_e32 v51, v51                                     // 00000000845C: 7E664533
	v_mul_f32_e32 v172, v172, v48                              // 000000008460: 0B5861AC
	v_mul_f32_e32 v173, v173, v49                              // 000000008464: 0B5A63AD
	v_mul_f32_e32 v174, v174, v50                              // 000000008468: 0B5C65AE
	v_mul_f32_e32 v175, v175, v51                              // 00000000846C: 0B5E67AF
	v_mul_f32_dpp v128, v18, v128 row_newbcast:0 row_mask:0xf bank_mask:0xf// 000000008470: 0B0100FA FF015012
	v_mul_f32_dpp v129, v18, v129 row_newbcast:1 row_mask:0xf bank_mask:0xf// 000000008478: 0B0302FA FF015112
	v_mul_f32_dpp v130, v18, v130 row_newbcast:2 row_mask:0xf bank_mask:0xf// 000000008480: 0B0504FA FF015212
	v_mul_f32_dpp v131, v18, v131 row_newbcast:3 row_mask:0xf bank_mask:0xf// 000000008488: 0B0706FA FF015312
	v_mul_f32_dpp v132, v18, v132 row_newbcast:0 row_mask:0xf bank_mask:0xf// 000000008490: 0B0908FA FF015012
	v_mul_f32_dpp v133, v18, v133 row_newbcast:1 row_mask:0xf bank_mask:0xf// 000000008498: 0B0B0AFA FF015112
	v_mul_f32_dpp v134, v18, v134 row_newbcast:2 row_mask:0xf bank_mask:0xf// 0000000084A0: 0B0D0CFA FF015212
	v_mul_f32_dpp v135, v18, v135 row_newbcast:3 row_mask:0xf bank_mask:0xf// 0000000084A8: 0B0F0EFA FF015312
	v_mul_f32_dpp v136, v18, v136 row_newbcast:4 row_mask:0xf bank_mask:0xf// 0000000084B0: 0B1110FA FF015412
	v_mul_f32_dpp v137, v18, v137 row_newbcast:5 row_mask:0xf bank_mask:0xf// 0000000084B8: 0B1312FA FF015512
	v_mul_f32_dpp v138, v18, v138 row_newbcast:6 row_mask:0xf bank_mask:0xf// 0000000084C0: 0B1514FA FF015612
	v_mul_f32_dpp v139, v18, v139 row_newbcast:7 row_mask:0xf bank_mask:0xf// 0000000084C8: 0B1716FA FF015712
	v_mul_f32_dpp v140, v18, v140 row_newbcast:4 row_mask:0xf bank_mask:0xf// 0000000084D0: 0B1918FA FF015412
	v_mul_f32_dpp v141, v18, v141 row_newbcast:5 row_mask:0xf bank_mask:0xf// 0000000084D8: 0B1B1AFA FF015512
	v_mul_f32_dpp v142, v18, v142 row_newbcast:6 row_mask:0xf bank_mask:0xf// 0000000084E0: 0B1D1CFA FF015612
	v_mul_f32_dpp v143, v18, v143 row_newbcast:7 row_mask:0xf bank_mask:0xf// 0000000084E8: 0B1F1EFA FF015712
	v_mul_f32_dpp v144, v18, v144 row_newbcast:8 row_mask:0xf bank_mask:0xf// 0000000084F0: 0B2120FA FF015812
	v_mul_f32_dpp v145, v18, v145 row_newbcast:9 row_mask:0xf bank_mask:0xf// 0000000084F8: 0B2322FA FF015912
	v_mul_f32_dpp v146, v18, v146 row_newbcast:10 row_mask:0xf bank_mask:0xf// 000000008500: 0B2524FA FF015A12
	v_mul_f32_dpp v147, v18, v147 row_newbcast:11 row_mask:0xf bank_mask:0xf// 000000008508: 0B2726FA FF015B12
	v_mul_f32_dpp v148, v18, v148 row_newbcast:8 row_mask:0xf bank_mask:0xf// 000000008510: 0B2928FA FF015812
	v_mul_f32_dpp v149, v18, v149 row_newbcast:9 row_mask:0xf bank_mask:0xf// 000000008518: 0B2B2AFA FF015912
	v_mul_f32_dpp v150, v18, v150 row_newbcast:10 row_mask:0xf bank_mask:0xf// 000000008520: 0B2D2CFA FF015A12
	v_mul_f32_dpp v151, v18, v151 row_newbcast:11 row_mask:0xf bank_mask:0xf// 000000008528: 0B2F2EFA FF015B12
	v_mul_f32_dpp v152, v18, v152 row_newbcast:12 row_mask:0xf bank_mask:0xf// 000000008530: 0B3130FA FF015C12
	v_mul_f32_dpp v153, v18, v153 row_newbcast:13 row_mask:0xf bank_mask:0xf// 000000008538: 0B3332FA FF015D12
	v_mul_f32_dpp v154, v18, v154 row_newbcast:14 row_mask:0xf bank_mask:0xf// 000000008540: 0B3534FA FF015E12
	v_mul_f32_dpp v155, v18, v155 row_newbcast:15 row_mask:0xf bank_mask:0xf// 000000008548: 0B3736FA FF015F12
	v_mul_f32_dpp v156, v18, v156 row_newbcast:12 row_mask:0xf bank_mask:0xf// 000000008550: 0B3938FA FF015C12
	v_mul_f32_dpp v157, v18, v157 row_newbcast:13 row_mask:0xf bank_mask:0xf// 000000008558: 0B3B3AFA FF015D12
	v_mul_f32_dpp v158, v18, v158 row_newbcast:14 row_mask:0xf bank_mask:0xf// 000000008560: 0B3D3CFA FF015E12
	v_mul_f32_dpp v159, v18, v159 row_newbcast:15 row_mask:0xf bank_mask:0xf// 000000008568: 0B3F3EFA FF015F12
	v_mul_f32_dpp v160, v19, v160 row_newbcast:0 row_mask:0xf bank_mask:0xf// 000000008570: 0B4140FA FF015013
	v_mul_f32_dpp v161, v19, v161 row_newbcast:1 row_mask:0xf bank_mask:0xf// 000000008578: 0B4342FA FF015113
	v_mul_f32_dpp v162, v19, v162 row_newbcast:2 row_mask:0xf bank_mask:0xf// 000000008580: 0B4544FA FF015213
	v_mul_f32_dpp v163, v19, v163 row_newbcast:3 row_mask:0xf bank_mask:0xf// 000000008588: 0B4746FA FF015313
	v_mul_f32_dpp v164, v19, v164 row_newbcast:0 row_mask:0xf bank_mask:0xf// 000000008590: 0B4948FA FF015013
	v_mul_f32_dpp v165, v19, v165 row_newbcast:1 row_mask:0xf bank_mask:0xf// 000000008598: 0B4B4AFA FF015113
	v_mul_f32_dpp v166, v19, v166 row_newbcast:2 row_mask:0xf bank_mask:0xf// 0000000085A0: 0B4D4CFA FF015213
	v_mul_f32_dpp v167, v19, v167 row_newbcast:3 row_mask:0xf bank_mask:0xf// 0000000085A8: 0B4F4EFA FF015313
	v_mul_f32_dpp v168, v19, v168 row_newbcast:4 row_mask:0xf bank_mask:0xf// 0000000085B0: 0B5150FA FF015413
	v_mul_f32_dpp v169, v19, v169 row_newbcast:5 row_mask:0xf bank_mask:0xf// 0000000085B8: 0B5352FA FF015513
	v_mul_f32_dpp v170, v19, v170 row_newbcast:6 row_mask:0xf bank_mask:0xf// 0000000085C0: 0B5554FA FF015613
	v_mul_f32_dpp v171, v19, v171 row_newbcast:7 row_mask:0xf bank_mask:0xf// 0000000085C8: 0B5756FA FF015713
	v_mul_f32_dpp v172, v19, v172 row_newbcast:4 row_mask:0xf bank_mask:0xf// 0000000085D0: 0B5958FA FF015413
	v_mul_f32_dpp v173, v19, v173 row_newbcast:5 row_mask:0xf bank_mask:0xf// 0000000085D8: 0B5B5AFA FF015513
	v_mul_f32_dpp v174, v19, v174 row_newbcast:6 row_mask:0xf bank_mask:0xf// 0000000085E0: 0B5D5CFA FF015613
	v_mul_f32_dpp v175, v19, v175 row_newbcast:7 row_mask:0xf bank_mask:0xf// 0000000085E8: 0B5F5EFA FF015713
	buffer_load_dword v12, v5, s[16:19], 0 offen               // 0000000085F0: E0501000 80040C05
	v_mov_b32_e32 v22, 0x358637bd                              // 0000000085F8: 7E2C02FF 358637BD
	v_mov_b32_e32 v23, 0x358637bd                              // 000000008600: 7E2E02FF 358637BD
	v_max3_f32 v22, |v128|, |v129|, v22                        // 000000008608: D1D30316 045B0380
	v_max3_f32 v22, |v130|, |v131|, v22                        // 000000008610: D1D30316 045B0782
	v_max3_f32 v23, |v132|, |v133|, v23                        // 000000008618: D1D30317 045F0B84
	v_max3_f32 v23, |v134|, |v135|, v23                        // 000000008620: D1D30317 045F0F86
	v_max3_f32 v22, |v136|, |v137|, v22                        // 000000008628: D1D30316 045B1388
	v_max3_f32 v22, |v138|, |v139|, v22                        // 000000008630: D1D30316 045B178A
	v_max3_f32 v23, |v140|, |v141|, v23                        // 000000008638: D1D30317 045F1B8C
	v_max3_f32 v23, |v142|, |v143|, v23                        // 000000008640: D1D30317 045F1F8E
	v_max3_f32 v22, |v144|, |v145|, v22                        // 000000008648: D1D30316 045B2390
	v_max3_f32 v22, |v146|, |v147|, v22                        // 000000008650: D1D30316 045B2792
	v_max3_f32 v23, |v148|, |v149|, v23                        // 000000008658: D1D30317 045F2B94
	v_max3_f32 v23, |v150|, |v151|, v23                        // 000000008660: D1D30317 045F2F96
	v_max3_f32 v22, |v152|, |v153|, v22                        // 000000008668: D1D30316 045B3398
	v_max3_f32 v22, |v154|, |v155|, v22                        // 000000008670: D1D30316 045B379A
	v_max3_f32 v23, |v156|, |v157|, v23                        // 000000008678: D1D30317 045F3B9C
	v_max3_f32 v23, |v158|, |v159|, v23                        // 000000008680: D1D30317 045F3F9E
	v_max3_f32 v22, |v160|, |v161|, v22                        // 000000008688: D1D30316 045B43A0
	v_max3_f32 v22, |v162|, |v163|, v22                        // 000000008690: D1D30316 045B47A2
	v_max3_f32 v23, |v164|, |v165|, v23                        // 000000008698: D1D30317 045F4BA4
	v_max3_f32 v23, |v166|, |v167|, v23                        // 0000000086A0: D1D30317 045F4FA6
	v_max3_f32 v22, |v168|, |v169|, v22                        // 0000000086A8: D1D30316 045B53A8
	v_max3_f32 v22, |v170|, |v171|, v22                        // 0000000086B0: D1D30316 045B57AA
	v_max3_f32 v23, |v172|, |v173|, v23                        // 0000000086B8: D1D30317 045F5BAC
	v_max3_f32 v23, |v174|, |v175|, v23                        // 0000000086C0: D1D30317 045F5FAE
	v_lshlrev_b32_e32 v48, 3, v0                               // 0000000086C8: 24600083
	s_mul_i32 s60, 0x200, s7                                   // 0000000086CC: 923C07FF 00000200
	v_add_u32_e32 v48, s60, v48                                // 0000000086D4: 6860603C
	ds_write_b64 v48, v[22:23] offset:16640                    // 0000000086D8: D89A4100 00001630
	s_waitcnt lgkmcnt(0)                                       // 0000000086E0: BF8CC07F
	s_barrier                                                  // 0000000086E4: BF8A0000
	v_and_b32_e32 v48, 15, v0                                  // 0000000086E8: 2660008F
	v_lshlrev_b32_e32 v48, 3, v48                              // 0000000086EC: 24606083
	ds_read_b64 v[96:97], v48 offset:16640                     // 0000000086F0: D8EC4100 60000030
	ds_read_b64 v[98:99], v48 offset:16768                     // 0000000086F8: D8EC4180 62000030
	ds_read_b64 v[100:101], v48 offset:16896                   // 000000008700: D8EC4200 64000030
	ds_read_b64 v[102:103], v48 offset:17024                   // 000000008708: D8EC4280 66000030
	ds_read_b64 v[104:105], v48 offset:17152                   // 000000008710: D8EC4300 68000030
	ds_read_b64 v[106:107], v48 offset:17280                   // 000000008718: D8EC4380 6A000030
	ds_read_b64 v[108:109], v48 offset:17408                   // 000000008720: D8EC4400 6C000030
	ds_read_b64 v[110:111], v48 offset:17536                   // 000000008728: D8EC4480 6E000030
	ds_read_b64 v[112:113], v48 offset:17664                   // 000000008730: D8EC4500 70000030
	ds_read_b64 v[114:115], v48 offset:17792                   // 000000008738: D8EC4580 72000030
	ds_read_b64 v[116:117], v48 offset:17920                   // 000000008740: D8EC4600 74000030
	ds_read_b64 v[118:119], v48 offset:18048                   // 000000008748: D8EC4680 76000030
	ds_read_b64 v[120:121], v48 offset:18176                   // 000000008750: D8EC4700 78000030
	ds_read_b64 v[122:123], v48 offset:18304                   // 000000008758: D8EC4780 7A000030
	ds_read_b64 v[124:125], v48 offset:18432                   // 000000008760: D8EC4800 7C000030
	ds_read_b64 v[126:127], v48 offset:18560                   // 000000008768: D8EC4880 7E000030
	s_waitcnt lgkmcnt(0)                                       // 000000008770: BF8CC07F
	v_max3_f32 v22, |v96|, |v98|, v22                          // 000000008774: D1D30316 045AC560
	v_max3_f32 v23, |v97|, |v99|, v23                          // 00000000877C: D1D30317 045EC761
	v_max3_f32 v22, |v100|, |v102|, v22                        // 000000008784: D1D30316 045ACD64
	v_max3_f32 v23, |v101|, |v103|, v23                        // 00000000878C: D1D30317 045ECF65
	v_max3_f32 v22, |v104|, |v106|, v22                        // 000000008794: D1D30316 045AD568
	v_max3_f32 v23, |v105|, |v107|, v23                        // 00000000879C: D1D30317 045ED769
	v_max3_f32 v22, |v108|, |v110|, v22                        // 0000000087A4: D1D30316 045ADD6C
	v_max3_f32 v23, |v109|, |v111|, v23                        // 0000000087AC: D1D30317 045EDF6D
	v_max3_f32 v22, |v112|, |v114|, v22                        // 0000000087B4: D1D30316 045AE570
	v_max3_f32 v23, |v113|, |v115|, v23                        // 0000000087BC: D1D30317 045EE771
	v_max3_f32 v22, |v116|, |v118|, v22                        // 0000000087C4: D1D30316 045AED74
	v_max3_f32 v23, |v117|, |v119|, v23                        // 0000000087CC: D1D30317 045EEF75
	v_max3_f32 v22, |v120|, |v122|, v22                        // 0000000087D4: D1D30316 045AF578
	v_max3_f32 v23, |v121|, |v123|, v23                        // 0000000087DC: D1D30317 045EF779
	v_max3_f32 v22, |v124|, |v126|, v22                        // 0000000087E4: D1D30316 045AFD7C
	v_max3_f32 v23, |v125|, |v127|, v23                        // 0000000087EC: D1D30317 045EFF7D
	v_rcp_f32_e32 v22, v22                                     // 0000000087F4: 7E2C4516
	v_rcp_f32_e32 v23, v23                                     // 0000000087F8: 7E2E4517
	v_mul_f32_e32 v22, 0x42fe0000, v22                         // 0000000087FC: 0A2C2CFF 42FE0000
	v_mul_f32_e32 v23, 0x42fe0000, v23                         // 000000008804: 0A2E2EFF 42FE0000
	v_mul_f32_e32 v128, v22, v128                              // 00000000880C: 0B010116
	v_mul_f32_e32 v129, v22, v129                              // 000000008810: 0B030316
	v_mul_f32_e32 v130, v22, v130                              // 000000008814: 0B050516
	v_mul_f32_e32 v131, v22, v131                              // 000000008818: 0B070716
	v_cvt_i32_f32_e32 v128, v128                               // 00000000881C: 7F001180
	v_cvt_i32_f32_e32 v129, v129                               // 000000008820: 7F021181
	v_cvt_i32_f32_e32 v130, v130                               // 000000008824: 7F041182
	v_cvt_i32_f32_e32 v131, v131                               // 000000008828: 7F061183
	v_perm_b32 v128, v129, v128, s53                           // 00000000882C: D1ED0080 00D70181
	v_perm_b32 v128, v130, v128, s54                           // 000000008834: D1ED0080 00DB0182
	v_perm_b32 v128, v131, v128, s55                           // 00000000883C: D1ED0080 00DF0183
	v_mul_f32_e32 v132, v23, v132                              // 000000008844: 0B090917
	v_mul_f32_e32 v133, v23, v133                              // 000000008848: 0B0B0B17
	v_mul_f32_e32 v134, v23, v134                              // 00000000884C: 0B0D0D17
	v_mul_f32_e32 v135, v23, v135                              // 000000008850: 0B0F0F17
	v_cvt_i32_f32_e32 v132, v132                               // 000000008854: 7F081184
	v_cvt_i32_f32_e32 v133, v133                               // 000000008858: 7F0A1185
	v_cvt_i32_f32_e32 v134, v134                               // 00000000885C: 7F0C1186
	v_cvt_i32_f32_e32 v135, v135                               // 000000008860: 7F0E1187
	v_perm_b32 v129, v133, v132, s53                           // 000000008864: D1ED0081 00D70985
	v_perm_b32 v129, v134, v129, s54                           // 00000000886C: D1ED0081 00DB0386
	v_perm_b32 v129, v135, v129, s55                           // 000000008874: D1ED0081 00DF0387
	v_mul_f32_e32 v136, v22, v136                              // 00000000887C: 0B111116
	v_mul_f32_e32 v137, v22, v137                              // 000000008880: 0B131316
	v_mul_f32_e32 v138, v22, v138                              // 000000008884: 0B151516
	v_mul_f32_e32 v139, v22, v139                              // 000000008888: 0B171716
	v_cvt_i32_f32_e32 v136, v136                               // 00000000888C: 7F101188
	v_cvt_i32_f32_e32 v137, v137                               // 000000008890: 7F121189
	v_cvt_i32_f32_e32 v138, v138                               // 000000008894: 7F14118A
	v_cvt_i32_f32_e32 v139, v139                               // 000000008898: 7F16118B
	v_perm_b32 v130, v137, v136, s53                           // 00000000889C: D1ED0082 00D71189
	v_perm_b32 v130, v138, v130, s54                           // 0000000088A4: D1ED0082 00DB058A
	v_perm_b32 v130, v139, v130, s55                           // 0000000088AC: D1ED0082 00DF058B
	v_mul_f32_e32 v140, v23, v140                              // 0000000088B4: 0B191917
	v_mul_f32_e32 v141, v23, v141                              // 0000000088B8: 0B1B1B17
	v_mul_f32_e32 v142, v23, v142                              // 0000000088BC: 0B1D1D17
	v_mul_f32_e32 v143, v23, v143                              // 0000000088C0: 0B1F1F17
	v_cvt_i32_f32_e32 v140, v140                               // 0000000088C4: 7F18118C
	v_cvt_i32_f32_e32 v141, v141                               // 0000000088C8: 7F1A118D
	v_cvt_i32_f32_e32 v142, v142                               // 0000000088CC: 7F1C118E
	v_cvt_i32_f32_e32 v143, v143                               // 0000000088D0: 7F1E118F
	v_perm_b32 v131, v141, v140, s53                           // 0000000088D4: D1ED0083 00D7198D
	v_perm_b32 v131, v142, v131, s54                           // 0000000088DC: D1ED0083 00DB078E
	v_perm_b32 v131, v143, v131, s55                           // 0000000088E4: D1ED0083 00DF078F
	v_mul_f32_e32 v144, v22, v144                              // 0000000088EC: 0B212116
	v_mul_f32_e32 v145, v22, v145                              // 0000000088F0: 0B232316
	v_mul_f32_e32 v146, v22, v146                              // 0000000088F4: 0B252516
	v_mul_f32_e32 v147, v22, v147                              // 0000000088F8: 0B272716
	v_cvt_i32_f32_e32 v144, v144                               // 0000000088FC: 7F201190
	v_cvt_i32_f32_e32 v145, v145                               // 000000008900: 7F221191
	v_cvt_i32_f32_e32 v146, v146                               // 000000008904: 7F241192
	v_cvt_i32_f32_e32 v147, v147                               // 000000008908: 7F261193
	v_perm_b32 v132, v145, v144, s53                           // 00000000890C: D1ED0084 00D72191
	v_perm_b32 v132, v146, v132, s54                           // 000000008914: D1ED0084 00DB0992
	v_perm_b32 v132, v147, v132, s55                           // 00000000891C: D1ED0084 00DF0993
	v_mul_f32_e32 v148, v23, v148                              // 000000008924: 0B292917
	v_mul_f32_e32 v149, v23, v149                              // 000000008928: 0B2B2B17
	v_mul_f32_e32 v150, v23, v150                              // 00000000892C: 0B2D2D17
	v_mul_f32_e32 v151, v23, v151                              // 000000008930: 0B2F2F17
	v_cvt_i32_f32_e32 v148, v148                               // 000000008934: 7F281194
	v_cvt_i32_f32_e32 v149, v149                               // 000000008938: 7F2A1195
	v_cvt_i32_f32_e32 v150, v150                               // 00000000893C: 7F2C1196
	v_cvt_i32_f32_e32 v151, v151                               // 000000008940: 7F2E1197
	v_perm_b32 v133, v149, v148, s53                           // 000000008944: D1ED0085 00D72995
	v_perm_b32 v133, v150, v133, s54                           // 00000000894C: D1ED0085 00DB0B96
	v_perm_b32 v133, v151, v133, s55                           // 000000008954: D1ED0085 00DF0B97
	v_mul_f32_e32 v152, v22, v152                              // 00000000895C: 0B313116
	v_mul_f32_e32 v153, v22, v153                              // 000000008960: 0B333316
	v_mul_f32_e32 v154, v22, v154                              // 000000008964: 0B353516
	v_mul_f32_e32 v155, v22, v155                              // 000000008968: 0B373716
	v_cvt_i32_f32_e32 v152, v152                               // 00000000896C: 7F301198
	v_cvt_i32_f32_e32 v153, v153                               // 000000008970: 7F321199
	v_cvt_i32_f32_e32 v154, v154                               // 000000008974: 7F34119A
	v_cvt_i32_f32_e32 v155, v155                               // 000000008978: 7F36119B
	v_perm_b32 v134, v153, v152, s53                           // 00000000897C: D1ED0086 00D73199
	v_perm_b32 v134, v154, v134, s54                           // 000000008984: D1ED0086 00DB0D9A
	v_perm_b32 v134, v155, v134, s55                           // 00000000898C: D1ED0086 00DF0D9B
	v_mul_f32_e32 v156, v23, v156                              // 000000008994: 0B393917
	v_mul_f32_e32 v157, v23, v157                              // 000000008998: 0B3B3B17
	v_mul_f32_e32 v158, v23, v158                              // 00000000899C: 0B3D3D17
	v_mul_f32_e32 v159, v23, v159                              // 0000000089A0: 0B3F3F17
	v_cvt_i32_f32_e32 v156, v156                               // 0000000089A4: 7F38119C
	v_cvt_i32_f32_e32 v157, v157                               // 0000000089A8: 7F3A119D
	v_cvt_i32_f32_e32 v158, v158                               // 0000000089AC: 7F3C119E
	v_cvt_i32_f32_e32 v159, v159                               // 0000000089B0: 7F3E119F
	v_perm_b32 v135, v157, v156, s53                           // 0000000089B4: D1ED0087 00D7399D
	v_perm_b32 v135, v158, v135, s54                           // 0000000089BC: D1ED0087 00DB0F9E
	v_perm_b32 v135, v159, v135, s55                           // 0000000089C4: D1ED0087 00DF0F9F
	v_mul_f32_e32 v160, v22, v160                              // 0000000089CC: 0B414116
	v_mul_f32_e32 v161, v22, v161                              // 0000000089D0: 0B434316
	v_mul_f32_e32 v162, v22, v162                              // 0000000089D4: 0B454516
	v_mul_f32_e32 v163, v22, v163                              // 0000000089D8: 0B474716
	v_cvt_i32_f32_e32 v160, v160                               // 0000000089DC: 7F4011A0
	v_cvt_i32_f32_e32 v161, v161                               // 0000000089E0: 7F4211A1
	v_cvt_i32_f32_e32 v162, v162                               // 0000000089E4: 7F4411A2
	v_cvt_i32_f32_e32 v163, v163                               // 0000000089E8: 7F4611A3
	v_perm_b32 v136, v161, v160, s53                           // 0000000089EC: D1ED0088 00D741A1
	v_perm_b32 v136, v162, v136, s54                           // 0000000089F4: D1ED0088 00DB11A2
	v_perm_b32 v136, v163, v136, s55                           // 0000000089FC: D1ED0088 00DF11A3
	v_mul_f32_e32 v164, v23, v164                              // 000000008A04: 0B494917
	v_mul_f32_e32 v165, v23, v165                              // 000000008A08: 0B4B4B17
	v_mul_f32_e32 v166, v23, v166                              // 000000008A0C: 0B4D4D17
	v_mul_f32_e32 v167, v23, v167                              // 000000008A10: 0B4F4F17
	v_cvt_i32_f32_e32 v164, v164                               // 000000008A14: 7F4811A4
	v_cvt_i32_f32_e32 v165, v165                               // 000000008A18: 7F4A11A5
	v_cvt_i32_f32_e32 v166, v166                               // 000000008A1C: 7F4C11A6
	v_cvt_i32_f32_e32 v167, v167                               // 000000008A20: 7F4E11A7
	v_perm_b32 v137, v165, v164, s53                           // 000000008A24: D1ED0089 00D749A5
	v_perm_b32 v137, v166, v137, s54                           // 000000008A2C: D1ED0089 00DB13A6
	v_perm_b32 v137, v167, v137, s55                           // 000000008A34: D1ED0089 00DF13A7
	v_mul_f32_e32 v168, v22, v168                              // 000000008A3C: 0B515116
	v_mul_f32_e32 v169, v22, v169                              // 000000008A40: 0B535316
	v_mul_f32_e32 v170, v22, v170                              // 000000008A44: 0B555516
	v_mul_f32_e32 v171, v22, v171                              // 000000008A48: 0B575716
	v_cvt_i32_f32_e32 v168, v168                               // 000000008A4C: 7F5011A8
	v_cvt_i32_f32_e32 v169, v169                               // 000000008A50: 7F5211A9
	v_cvt_i32_f32_e32 v170, v170                               // 000000008A54: 7F5411AA
	v_cvt_i32_f32_e32 v171, v171                               // 000000008A58: 7F5611AB
	v_perm_b32 v138, v169, v168, s53                           // 000000008A5C: D1ED008A 00D751A9
	v_perm_b32 v138, v170, v138, s54                           // 000000008A64: D1ED008A 00DB15AA
	v_perm_b32 v138, v171, v138, s55                           // 000000008A6C: D1ED008A 00DF15AB
	v_mul_f32_e32 v172, v23, v172                              // 000000008A74: 0B595917
	v_mul_f32_e32 v173, v23, v173                              // 000000008A78: 0B5B5B17
	v_mul_f32_e32 v174, v23, v174                              // 000000008A7C: 0B5D5D17
	v_mul_f32_e32 v175, v23, v175                              // 000000008A80: 0B5F5F17
	v_cvt_i32_f32_e32 v172, v172                               // 000000008A84: 7F5811AC
	v_cvt_i32_f32_e32 v173, v173                               // 000000008A88: 7F5A11AD
	v_cvt_i32_f32_e32 v174, v174                               // 000000008A8C: 7F5C11AE
	v_cvt_i32_f32_e32 v175, v175                               // 000000008A90: 7F5E11AF
	v_perm_b32 v139, v173, v172, s53                           // 000000008A94: D1ED008B 00D759AD
	v_perm_b32 v139, v174, v139, s54                           // 000000008A9C: D1ED008B 00DB17AE
	v_perm_b32 v139, v175, v139, s55                           // 000000008AA4: D1ED008B 00DF17AF
	v_rcp_f32_e32 v24, v22                                     // 000000008AAC: 7E304516
	v_rcp_f32_e32 v25, v23                                     // 000000008AB0: 7E324517
	v_lshrrev_b32_e32 v48, 5, v0                               // 000000008AB4: 20600085
	v_lshlrev_b32_e32 v49, 5, v48                              // 000000008AB8: 24626085
	v_and_b32_e32 v48, 31, v0                                  // 000000008ABC: 2660009F
	v_lshrrev_b32_e32 v50, 4, v48                              // 000000008AC0: 20646084
	v_add_u32_e32 v49, v50, v49                                // 000000008AC4: 68626332
	v_and_b32_e32 v48, 15, v0                                  // 000000008AC8: 2660008F
	v_lshlrev_b32_e32 v48, 1, v48                              // 000000008ACC: 24606081
	v_add_u32_e32 v49, v48, v49                                // 000000008AD0: 68626330
	v_lshlrev_b32_e32 v48, 2, v49                              // 000000008AD4: 24606282
	s_mul_i32 s60, 0x100, s7                                   // 000000008AD8: 923C07FF 00000100
	v_add_u32_e64 v48, v48, s60                                // 000000008AE0: D1340030 00007930
	ds_write_b32 v48, v128 offset:18688                        // 000000008AE8: D81A4900 00008030
	ds_write_b32 v48, v129 offset:24832                        // 000000008AF0: D81A6100 00008130
	ds_write_b32 v48, v130 offset:19712                        // 000000008AF8: D81A4D00 00008230
	ds_write_b32 v48, v131 offset:25856                        // 000000008B00: D81A6500 00008330
	ds_write_b32 v48, v132 offset:20736                        // 000000008B08: D81A5100 00008430
	ds_write_b32 v48, v133 offset:26880                        // 000000008B10: D81A6900 00008530
	ds_write_b32 v48, v134 offset:21760                        // 000000008B18: D81A5500 00008630
	ds_write_b32 v48, v135 offset:27904                        // 000000008B20: D81A6D00 00008730
	ds_write_b32 v48, v136 offset:22784                        // 000000008B28: D81A5900 00008830
	ds_write_b32 v48, v137 offset:28928                        // 000000008B30: D81A7100 00008930
	ds_write_b32 v48, v138 offset:23808                        // 000000008B38: D81A5D00 00008A30
	ds_write_b32 v48, v139 offset:29952                        // 000000008B40: D81A7500 00008B30
	s_waitcnt lgkmcnt(0)                                       // 000000008B48: BF8CC07F
	s_barrier                                                  // 000000008B4C: BF8A0000
	v_lshrrev_b32_e32 v48, 4, v0                               // 000000008B50: 20600084
	v_lshlrev_b32_e32 v49, 6, v48                              // 000000008B54: 24626086
	v_and_b32_e32 v48, 15, v0                                  // 000000008B58: 2660008F
	v_lshlrev_b32_e32 v48, 1, v48                              // 000000008B5C: 24606081
	v_add_u32_e32 v49, v48, v49                                // 000000008B60: 68626330
	v_lshlrev_b32_e32 v48, 2, v49                              // 000000008B64: 24606282
	ds_read_b64 v[128:129], v48 offset:18688                   // 000000008B68: D8EC4900 80000030
	ds_read_b64 v[130:131], v48 offset:18816                   // 000000008B70: D8EC4980 82000030
	ds_read_b64 v[132:133], v48 offset:19712                   // 000000008B78: D8EC4D00 84000030
	ds_read_b64 v[134:135], v48 offset:19840                   // 000000008B80: D8EC4D80 86000030
	ds_read_b64 v[136:137], v48 offset:20736                   // 000000008B88: D8EC5100 88000030
	ds_read_b64 v[138:139], v48 offset:20864                   // 000000008B90: D8EC5180 8A000030
	ds_read_b64 v[140:141], v48 offset:21760                   // 000000008B98: D8EC5500 8C000030
	ds_read_b64 v[142:143], v48 offset:21888                   // 000000008BA0: D8EC5580 8E000030
	ds_read_b64 v[144:145], v48 offset:22784                   // 000000008BA8: D8EC5900 90000030
	ds_read_b64 v[146:147], v48 offset:22912                   // 000000008BB0: D8EC5980 92000030
	ds_read_b64 v[148:149], v48 offset:23808                   // 000000008BB8: D8EC5D00 94000030
	ds_read_b64 v[150:151], v48 offset:23936                   // 000000008BC0: D8EC5D80 96000030
	ds_read_b64 v[152:153], v48 offset:24832                   // 000000008BC8: D8EC6100 98000030
	ds_read_b64 v[154:155], v48 offset:24960                   // 000000008BD0: D8EC6180 9A000030
	ds_read_b64 v[156:157], v48 offset:25856                   // 000000008BD8: D8EC6500 9C000030
	ds_read_b64 v[158:159], v48 offset:25984                   // 000000008BE0: D8EC6580 9E000030
	ds_read_b64 v[160:161], v48 offset:26880                   // 000000008BE8: D8EC6900 A0000030
	ds_read_b64 v[162:163], v48 offset:27008                   // 000000008BF0: D8EC6980 A2000030
	ds_read_b64 v[164:165], v48 offset:27904                   // 000000008BF8: D8EC6D00 A4000030
	ds_read_b64 v[166:167], v48 offset:28032                   // 000000008C00: D8EC6D80 A6000030
	ds_read_b64 v[168:169], v48 offset:28928                   // 000000008C08: D8EC7100 A8000030
	ds_read_b64 v[170:171], v48 offset:29056                   // 000000008C10: D8EC7180 AA000030
	ds_read_b64 v[172:173], v48 offset:29952                   // 000000008C18: D8EC7500 AC000030
	ds_read_b64 v[174:175], v48 offset:30080                   // 000000008C20: D8EC7580 AE000030
	s_add_u32 s12, s56, s12                                    // 000000008C28: 800C0C38
	s_addc_u32 s13, 0, s13                                     // 000000008C2C: 820D0D80
	s_add_u32 s16, s79, s16                                    // 000000008C30: 8010104F
	s_addc_u32 s17, 0, s17                                     // 000000008C34: 82111180
	s_mov_b32 s80, 0                                           // 000000008C38: BED00080
	s_waitcnt vmcnt(0) expcnt(0) lgkmcnt(0)                    // 000000008C3C: BF8C0000

0000000000008c40 <label_1790>:
	s_waitcnt vmcnt(37)                                        // 000000008C40: BF8C8F75
	s_barrier                                                  // 000000008C44: BF8A0000
	v_mfma_i32_16x16x32_i8 v[176:179], a[0:1], v[128:129], 0   // 000000008C48: D3D700B0 0A030100
	buffer_load_dwordx4 a[96:99], v40, s[12:15], 0 offen       // 000000008C50: E05C1000 80836028
	v_mfma_i32_16x16x32_i8 v[176:179], a[2:3], v[130:131], v[176:179]// 000000008C58: D3D700B0 0EC30502
	v_mfma_i32_16x16x32_i8 v[180:183], a[0:1], v[152:153], 0   // 000000008C60: D3D700B4 0A033100
	v_mfma_i32_16x16x32_i8 v[180:183], a[2:3], v[154:155], v[180:183]// 000000008C68: D3D700B4 0ED33502
	v_mfma_i32_16x16x32_i8 v[184:187], a[4:5], v[128:129], 0   // 000000008C70: D3D700B8 0A030104
	buffer_load_dwordx4 a[100:103], v41, s[12:15], 0 offen     // 000000008C78: E05C1000 80836429
	v_mfma_i32_16x16x32_i8 v[184:187], a[6:7], v[130:131], v[184:187]// 000000008C80: D3D700B8 0EE30506
	v_mfma_i32_16x16x32_i8 v[188:191], a[4:5], v[152:153], 0   // 000000008C88: D3D700BC 0A033104
	v_mfma_i32_16x16x32_i8 v[188:191], a[6:7], v[154:155], v[188:191]// 000000008C90: D3D700BC 0EF33506
	v_mfma_i32_16x16x32_i8 v[192:195], a[8:9], v[128:129], 0   // 000000008C98: D3D700C0 0A030108
	buffer_load_dwordx4 a[104:107], v42, s[12:15], 0 offen     // 000000008CA0: E05C1000 8083682A
	v_mfma_i32_16x16x32_i8 v[192:195], a[10:11], v[130:131], v[192:195]// 000000008CA8: D3D700C0 0F03050A
	v_mfma_i32_16x16x32_i8 v[196:199], a[8:9], v[152:153], 0   // 000000008CB0: D3D700C4 0A033108
	v_mfma_i32_16x16x32_i8 v[196:199], a[10:11], v[154:155], v[196:199]// 000000008CB8: D3D700C4 0F13350A
	v_mfma_i32_16x16x32_i8 v[200:203], a[12:13], v[128:129], 0 // 000000008CC0: D3D700C8 0A03010C
	buffer_load_dwordx4 a[108:111], v43, s[12:15], 0 offen     // 000000008CC8: E05C1000 80836C2B
	s_add_u32 s12, s78, s12                                    // 000000008CD0: 800C0C4E
	s_addc_u32 s13, 0, s13                                     // 000000008CD4: 820D0D80
	v_mfma_i32_16x16x32_i8 v[200:203], a[14:15], v[130:131], v[200:203]// 000000008CD8: D3D700C8 0F23050E
	v_mfma_i32_16x16x32_i8 v[204:207], a[12:13], v[152:153], 0 // 000000008CE0: D3D700CC 0A03310C
	v_mfma_i32_16x16x32_i8 v[204:207], a[14:15], v[154:155], v[204:207]// 000000008CE8: D3D700CC 0F33350E
	s_waitcnt vmcnt(37)                                        // 000000008CF0: BF8C8F75
	v_mfma_i32_16x16x32_i8 v[176:179], a[16:17], v[132:133], v[176:179]// 000000008CF4: D3D700B0 0EC30910
	buffer_load_dwordx4 a[112:115], v40, s[12:15], 0 offen     // 000000008CFC: E05C1000 80837028
	v_mfma_i32_16x16x32_i8 v[176:179], a[18:19], v[134:135], v[176:179]// 000000008D04: D3D700B0 0EC30D12
	v_mfma_i32_16x16x32_i8 v[180:183], a[16:17], v[156:157], v[180:183]// 000000008D0C: D3D700B4 0ED33910
	v_mfma_i32_16x16x32_i8 v[180:183], a[18:19], v[158:159], v[180:183]// 000000008D14: D3D700B4 0ED33D12
	v_mfma_i32_16x16x32_i8 v[184:187], a[20:21], v[132:133], v[184:187]// 000000008D1C: D3D700B8 0EE30914
	buffer_load_dwordx4 a[116:119], v41, s[12:15], 0 offen     // 000000008D24: E05C1000 80837429
	v_mfma_i32_16x16x32_i8 v[184:187], a[22:23], v[134:135], v[184:187]// 000000008D2C: D3D700B8 0EE30D16
	v_mfma_i32_16x16x32_i8 v[188:191], a[20:21], v[156:157], v[188:191]// 000000008D34: D3D700BC 0EF33914
	v_mfma_i32_16x16x32_i8 v[188:191], a[22:23], v[158:159], v[188:191]// 000000008D3C: D3D700BC 0EF33D16
	v_mfma_i32_16x16x32_i8 v[192:195], a[24:25], v[132:133], v[192:195]// 000000008D44: D3D700C0 0F030918
	buffer_load_dwordx4 a[120:123], v42, s[12:15], 0 offen     // 000000008D4C: E05C1000 8083782A
	v_mfma_i32_16x16x32_i8 v[192:195], a[26:27], v[134:135], v[192:195]// 000000008D54: D3D700C0 0F030D1A
	v_mfma_i32_16x16x32_i8 v[196:199], a[24:25], v[156:157], v[196:199]// 000000008D5C: D3D700C4 0F133918
	v_mfma_i32_16x16x32_i8 v[196:199], a[26:27], v[158:159], v[196:199]// 000000008D64: D3D700C4 0F133D1A
	v_mfma_i32_16x16x32_i8 v[200:203], a[28:29], v[132:133], v[200:203]// 000000008D6C: D3D700C8 0F23091C
	buffer_load_dwordx4 a[124:127], v43, s[12:15], 0 offen     // 000000008D74: E05C1000 80837C2B
	s_add_u32 s12, s78, s12                                    // 000000008D7C: 800C0C4E
	s_addc_u32 s13, 0, s13                                     // 000000008D80: 820D0D80
	v_mfma_i32_16x16x32_i8 v[200:203], a[30:31], v[134:135], v[200:203]// 000000008D84: D3D700C8 0F230D1E
	v_mfma_i32_16x16x32_i8 v[204:207], a[28:29], v[156:157], v[204:207]// 000000008D8C: D3D700CC 0F33391C
	v_mfma_i32_16x16x32_i8 v[204:207], a[30:31], v[158:159], v[204:207]// 000000008D94: D3D700CC 0F333D1E
	s_waitcnt vmcnt(37)                                        // 000000008D9C: BF8C8F75
	v_mfma_i32_16x16x32_i8 v[176:179], a[32:33], v[136:137], v[176:179]// 000000008DA0: D3D700B0 0EC31120
	buffer_load_dwordx4 a[128:131], v40, s[12:15], 0 offen     // 000000008DA8: E05C1000 80838028
	v_mfma_i32_16x16x32_i8 v[176:179], a[34:35], v[138:139], v[176:179]// 000000008DB0: D3D700B0 0EC31522
	v_mfma_i32_16x16x32_i8 v[180:183], a[32:33], v[160:161], v[180:183]// 000000008DB8: D3D700B4 0ED34120
	v_mfma_i32_16x16x32_i8 v[180:183], a[34:35], v[162:163], v[180:183]// 000000008DC0: D3D700B4 0ED34522
	v_mfma_i32_16x16x32_i8 v[184:187], a[36:37], v[136:137], v[184:187]// 000000008DC8: D3D700B8 0EE31124
	buffer_load_dwordx4 a[132:135], v41, s[12:15], 0 offen     // 000000008DD0: E05C1000 80838429
	v_mfma_i32_16x16x32_i8 v[184:187], a[38:39], v[138:139], v[184:187]// 000000008DD8: D3D700B8 0EE31526
	v_mfma_i32_16x16x32_i8 v[188:191], a[36:37], v[160:161], v[188:191]// 000000008DE0: D3D700BC 0EF34124
	v_mfma_i32_16x16x32_i8 v[188:191], a[38:39], v[162:163], v[188:191]// 000000008DE8: D3D700BC 0EF34526
	v_mfma_i32_16x16x32_i8 v[192:195], a[40:41], v[136:137], v[192:195]// 000000008DF0: D3D700C0 0F031128
	buffer_load_dwordx4 a[136:139], v42, s[12:15], 0 offen     // 000000008DF8: E05C1000 8083882A
	v_mfma_i32_16x16x32_i8 v[192:195], a[42:43], v[138:139], v[192:195]// 000000008E00: D3D700C0 0F03152A
	v_mfma_i32_16x16x32_i8 v[196:199], a[40:41], v[160:161], v[196:199]// 000000008E08: D3D700C4 0F134128
	v_mfma_i32_16x16x32_i8 v[196:199], a[42:43], v[162:163], v[196:199]// 000000008E10: D3D700C4 0F13452A
	v_mfma_i32_16x16x32_i8 v[200:203], a[44:45], v[136:137], v[200:203]// 000000008E18: D3D700C8 0F23112C
	buffer_load_dwordx4 a[140:143], v43, s[12:15], 0 offen     // 000000008E20: E05C1000 80838C2B
	s_add_u32 s12, s78, s12                                    // 000000008E28: 800C0C4E
	s_addc_u32 s13, 0, s13                                     // 000000008E2C: 820D0D80
	v_mfma_i32_16x16x32_i8 v[200:203], a[46:47], v[138:139], v[200:203]// 000000008E30: D3D700C8 0F23152E
	v_mfma_i32_16x16x32_i8 v[204:207], a[44:45], v[160:161], v[204:207]// 000000008E38: D3D700CC 0F33412C
	v_mfma_i32_16x16x32_i8 v[204:207], a[46:47], v[162:163], v[204:207]// 000000008E40: D3D700CC 0F33452E
	s_waitcnt vmcnt(37)                                        // 000000008E48: BF8C8F75
	v_mfma_i32_16x16x32_i8 v[176:179], a[48:49], v[140:141], v[176:179]// 000000008E4C: D3D700B0 0EC31930
	buffer_load_dwordx4 a[144:147], v40, s[12:15], 0 offen     // 000000008E54: E05C1000 80839028
	v_mfma_i32_16x16x32_i8 v[176:179], a[50:51], v[142:143], v[176:179]// 000000008E5C: D3D700B0 0EC31D32
	v_mfma_i32_16x16x32_i8 v[180:183], a[48:49], v[164:165], v[180:183]// 000000008E64: D3D700B4 0ED34930
	v_mfma_i32_16x16x32_i8 v[180:183], a[50:51], v[166:167], v[180:183]// 000000008E6C: D3D700B4 0ED34D32
	v_mfma_i32_16x16x32_i8 v[184:187], a[52:53], v[140:141], v[184:187]// 000000008E74: D3D700B8 0EE31934
	buffer_load_dwordx4 a[148:151], v41, s[12:15], 0 offen     // 000000008E7C: E05C1000 80839429
	v_mfma_i32_16x16x32_i8 v[184:187], a[54:55], v[142:143], v[184:187]// 000000008E84: D3D700B8 0EE31D36
	v_mfma_i32_16x16x32_i8 v[188:191], a[52:53], v[164:165], v[188:191]// 000000008E8C: D3D700BC 0EF34934
	v_mfma_i32_16x16x32_i8 v[188:191], a[54:55], v[166:167], v[188:191]// 000000008E94: D3D700BC 0EF34D36
	v_mfma_i32_16x16x32_i8 v[192:195], a[56:57], v[140:141], v[192:195]// 000000008E9C: D3D700C0 0F031938
	buffer_load_dwordx4 a[152:155], v42, s[12:15], 0 offen     // 000000008EA4: E05C1000 8083982A
	v_mfma_i32_16x16x32_i8 v[192:195], a[58:59], v[142:143], v[192:195]// 000000008EAC: D3D700C0 0F031D3A
	v_mfma_i32_16x16x32_i8 v[196:199], a[56:57], v[164:165], v[196:199]// 000000008EB4: D3D700C4 0F134938
	v_mfma_i32_16x16x32_i8 v[196:199], a[58:59], v[166:167], v[196:199]// 000000008EBC: D3D700C4 0F134D3A
	v_mfma_i32_16x16x32_i8 v[200:203], a[60:61], v[140:141], v[200:203]// 000000008EC4: D3D700C8 0F23193C
	buffer_load_dwordx4 a[156:159], v43, s[12:15], 0 offen     // 000000008ECC: E05C1000 80839C2B
	s_add_u32 s12, s78, s12                                    // 000000008ED4: 800C0C4E
	s_addc_u32 s13, 0, s13                                     // 000000008ED8: 820D0D80
	v_mfma_i32_16x16x32_i8 v[200:203], a[62:63], v[142:143], v[200:203]// 000000008EDC: D3D700C8 0F231D3E
	v_mfma_i32_16x16x32_i8 v[204:207], a[60:61], v[164:165], v[204:207]// 000000008EE4: D3D700CC 0F33493C
	v_mfma_i32_16x16x32_i8 v[204:207], a[62:63], v[166:167], v[204:207]// 000000008EEC: D3D700CC 0F334D3E
	s_waitcnt vmcnt(37)                                        // 000000008EF4: BF8C8F75
	v_mfma_i32_16x16x32_i8 v[176:179], a[64:65], v[144:145], v[176:179]// 000000008EF8: D3D700B0 0EC32140
	buffer_load_dwordx4 a[160:163], v40, s[12:15], 0 offen     // 000000008F00: E05C1000 8083A028
	v_mfma_i32_16x16x32_i8 v[176:179], a[66:67], v[146:147], v[176:179]// 000000008F08: D3D700B0 0EC32542
	v_mfma_i32_16x16x32_i8 v[180:183], a[64:65], v[168:169], v[180:183]// 000000008F10: D3D700B4 0ED35140
	v_mfma_i32_16x16x32_i8 v[180:183], a[66:67], v[170:171], v[180:183]// 000000008F18: D3D700B4 0ED35542
	v_mfma_i32_16x16x32_i8 v[184:187], a[68:69], v[144:145], v[184:187]// 000000008F20: D3D700B8 0EE32144
	buffer_load_dwordx4 a[164:167], v41, s[12:15], 0 offen     // 000000008F28: E05C1000 8083A429
	v_mfma_i32_16x16x32_i8 v[184:187], a[70:71], v[146:147], v[184:187]// 000000008F30: D3D700B8 0EE32546
	v_mfma_i32_16x16x32_i8 v[188:191], a[68:69], v[168:169], v[188:191]// 000000008F38: D3D700BC 0EF35144
	v_mfma_i32_16x16x32_i8 v[188:191], a[70:71], v[170:171], v[188:191]// 000000008F40: D3D700BC 0EF35546
	v_mfma_i32_16x16x32_i8 v[192:195], a[72:73], v[144:145], v[192:195]// 000000008F48: D3D700C0 0F032148
	buffer_load_dwordx4 a[168:171], v42, s[12:15], 0 offen     // 000000008F50: E05C1000 8083A82A
	v_mfma_i32_16x16x32_i8 v[192:195], a[74:75], v[146:147], v[192:195]// 000000008F58: D3D700C0 0F03254A
	v_mfma_i32_16x16x32_i8 v[196:199], a[72:73], v[168:169], v[196:199]// 000000008F60: D3D700C4 0F135148
	v_mfma_i32_16x16x32_i8 v[196:199], a[74:75], v[170:171], v[196:199]// 000000008F68: D3D700C4 0F13554A
	v_mfma_i32_16x16x32_i8 v[200:203], a[76:77], v[144:145], v[200:203]// 000000008F70: D3D700C8 0F23214C
	buffer_load_dwordx4 a[172:175], v43, s[12:15], 0 offen     // 000000008F78: E05C1000 8083AC2B
	s_add_u32 s12, s78, s12                                    // 000000008F80: 800C0C4E
	s_addc_u32 s13, 0, s13                                     // 000000008F84: 820D0D80
	v_mfma_i32_16x16x32_i8 v[200:203], a[78:79], v[146:147], v[200:203]// 000000008F88: D3D700C8 0F23254E
	v_mfma_i32_16x16x32_i8 v[204:207], a[76:77], v[168:169], v[204:207]// 000000008F90: D3D700CC 0F33514C
	v_mfma_i32_16x16x32_i8 v[204:207], a[78:79], v[170:171], v[204:207]// 000000008F98: D3D700CC 0F33554E
	s_waitcnt vmcnt(36)                                        // 000000008FA0: BF8C8F74
	v_mfma_i32_16x16x32_i8 v[176:179], a[80:81], v[148:149], v[176:179]// 000000008FA4: D3D700B0 0EC32950
	buffer_load_dwordx4 a[176:179], v40, s[12:15], 0 offen     // 000000008FAC: E05C1000 8083B028
	v_mfma_i32_16x16x32_i8 v[176:179], a[82:83], v[150:151], v[176:179]// 000000008FB4: D3D700B0 0EC32D52
	v_mfma_i32_16x16x32_i8 v[180:183], a[80:81], v[172:173], v[180:183]// 000000008FBC: D3D700B4 0ED35950
	buffer_load_dword v13, v5, s[16:19], 0 offen               // 000000008FC4: E0501000 80040D05
	v_mfma_i32_16x16x32_i8 v[180:183], a[82:83], v[174:175], v[180:183]// 000000008FCC: D3D700B4 0ED35D52
	v_mfma_i32_16x16x32_i8 v[184:187], a[84:85], v[148:149], v[184:187]// 000000008FD4: D3D700B8 0EE32954
	buffer_load_dwordx4 a[180:183], v41, s[12:15], 0 offen     // 000000008FDC: E05C1000 8083B429
	v_mfma_i32_16x16x32_i8 v[184:187], a[86:87], v[150:151], v[184:187]// 000000008FE4: D3D700B8 0EE32D56
	v_mfma_i32_16x16x32_i8 v[188:191], a[84:85], v[172:173], v[188:191]// 000000008FEC: D3D700BC 0EF35954
	v_mfma_i32_16x16x32_i8 v[188:191], a[86:87], v[174:175], v[188:191]// 000000008FF4: D3D700BC 0EF35D56
	v_mfma_i32_16x16x32_i8 v[192:195], a[88:89], v[148:149], v[192:195]// 000000008FFC: D3D700C0 0F032958
	buffer_load_dwordx4 a[184:187], v42, s[12:15], 0 offen     // 000000009004: E05C1000 8083B82A
	v_mfma_i32_16x16x32_i8 v[192:195], a[90:91], v[150:151], v[192:195]// 00000000900C: D3D700C0 0F032D5A
	v_mfma_i32_16x16x32_i8 v[196:199], a[88:89], v[172:173], v[196:199]// 000000009014: D3D700C4 0F135958
	v_mfma_i32_16x16x32_i8 v[196:199], a[90:91], v[174:175], v[196:199]// 00000000901C: D3D700C4 0F135D5A
	v_mfma_i32_16x16x32_i8 v[200:203], a[92:93], v[148:149], v[200:203]// 000000009024: D3D700C8 0F23295C
	buffer_load_dwordx4 a[188:191], v43, s[12:15], 0 offen     // 00000000902C: E05C1000 8083BC2B
	v_mfma_i32_16x16x32_i8 v[200:203], a[94:95], v[150:151], v[200:203]// 000000009034: D3D700C8 0F232D5E
	v_mfma_i32_16x16x32_i8 v[204:207], a[92:93], v[172:173], v[204:207]// 00000000903C: D3D700CC 0F33595C
	v_mfma_i32_16x16x32_i8 v[204:207], a[94:95], v[174:175], v[204:207]// 000000009044: D3D700CC 0F335D5E
	s_add_u32 s60, 0x200, s80                                  // 00000000904C: 803C50FF 00000200
	s_cmp_lt_u32 s60, s81                                      // 000000009054: BF0A513C
	s_cselect_b32 s56, s56, 0                                  // 000000009058: 85388038
	s_cselect_b32 s78, s78, 0                                  // 00000000905C: 854E804E
	s_cselect_b32 s79, s79, 0                                  // 000000009060: 854F804F
	s_add_u32 s12, s56, s12                                    // 000000009064: 800C0C38
	s_addc_u32 s13, 0, s13                                     // 000000009068: 820D0D80
	s_add_u32 s16, s79, s16                                    // 00000000906C: 8010104F
	s_addc_u32 s17, 0, s17                                     // 000000009070: 82111180
	v_cvt_f32_i32_e32 v176, v176                               // 000000009074: 7F600BB0
	v_cvt_f32_i32_e32 v177, v177                               // 000000009078: 7F620BB1
	v_cvt_f32_i32_e32 v178, v178                               // 00000000907C: 7F640BB2
	v_cvt_f32_i32_e32 v179, v179                               // 000000009080: 7F660BB3
	v_mul_f32_e32 v176, v24, v176                              // 000000009084: 0B616118
	v_mul_f32_e32 v177, v24, v177                              // 000000009088: 0B636318
	v_mul_f32_e32 v178, v24, v178                              // 00000000908C: 0B656518
	v_mul_f32_e32 v179, v24, v179                              // 000000009090: 0B676718
	v_mul_f32_dpp v176, v12, v176 row_newbcast:0 row_mask:0xf bank_mask:0xf// 000000009094: 0B6160FA FF01500C
	v_mul_f32_dpp v177, v12, v177 row_newbcast:1 row_mask:0xf bank_mask:0xf// 00000000909C: 0B6362FA FF01510C
	v_mul_f32_dpp v178, v12, v178 row_newbcast:2 row_mask:0xf bank_mask:0xf// 0000000090A4: 0B6564FA FF01520C
	v_mul_f32_dpp v179, v12, v179 row_newbcast:3 row_mask:0xf bank_mask:0xf// 0000000090AC: 0B6766FA FF01530C
	v_mul_f32_e32 v176, v20, v176                              // 0000000090B4: 0B616114
	v_mul_f32_e32 v177, v20, v177                              // 0000000090B8: 0B636314
	v_mul_f32_e32 v178, v20, v178                              // 0000000090BC: 0B656514
	v_mul_f32_e32 v179, v20, v179                              // 0000000090C0: 0B676714
	v_cvt_f32_i32_e32 v180, v180                               // 0000000090C4: 7F680BB4
	v_cvt_f32_i32_e32 v181, v181                               // 0000000090C8: 7F6A0BB5
	v_cvt_f32_i32_e32 v182, v182                               // 0000000090CC: 7F6C0BB6
	v_cvt_f32_i32_e32 v183, v183                               // 0000000090D0: 7F6E0BB7
	v_mul_f32_e32 v180, v25, v180                              // 0000000090D4: 0B696919
	v_mul_f32_e32 v181, v25, v181                              // 0000000090D8: 0B6B6B19
	v_mul_f32_e32 v182, v25, v182                              // 0000000090DC: 0B6D6D19
	v_mul_f32_e32 v183, v25, v183                              // 0000000090E0: 0B6F6F19
	v_mul_f32_dpp v180, v12, v180 row_newbcast:0 row_mask:0xf bank_mask:0xf// 0000000090E4: 0B6968FA FF01500C
	v_mul_f32_dpp v181, v12, v181 row_newbcast:1 row_mask:0xf bank_mask:0xf// 0000000090EC: 0B6B6AFA FF01510C
	v_mul_f32_dpp v182, v12, v182 row_newbcast:2 row_mask:0xf bank_mask:0xf// 0000000090F4: 0B6D6CFA FF01520C
	v_mul_f32_dpp v183, v12, v183 row_newbcast:3 row_mask:0xf bank_mask:0xf// 0000000090FC: 0B6F6EFA FF01530C
	v_mul_f32_e32 v180, v21, v180                              // 000000009104: 0B696915
	v_mul_f32_e32 v181, v21, v181                              // 000000009108: 0B6B6B15
	v_mul_f32_e32 v182, v21, v182                              // 00000000910C: 0B6D6D15
	v_mul_f32_e32 v183, v21, v183                              // 000000009110: 0B6F6F15
	v_cvt_f32_i32_e32 v184, v184                               // 000000009114: 7F700BB8
	v_cvt_f32_i32_e32 v185, v185                               // 000000009118: 7F720BB9
	v_cvt_f32_i32_e32 v186, v186                               // 00000000911C: 7F740BBA
	v_cvt_f32_i32_e32 v187, v187                               // 000000009120: 7F760BBB
	v_mul_f32_e32 v184, v24, v184                              // 000000009124: 0B717118
	v_mul_f32_e32 v185, v24, v185                              // 000000009128: 0B737318
	v_mul_f32_e32 v186, v24, v186                              // 00000000912C: 0B757518
	v_mul_f32_e32 v187, v24, v187                              // 000000009130: 0B777718
	v_mul_f32_dpp v184, v12, v184 row_newbcast:4 row_mask:0xf bank_mask:0xf// 000000009134: 0B7170FA FF01540C
	v_mul_f32_dpp v185, v12, v185 row_newbcast:5 row_mask:0xf bank_mask:0xf// 00000000913C: 0B7372FA FF01550C
	v_mul_f32_dpp v186, v12, v186 row_newbcast:6 row_mask:0xf bank_mask:0xf// 000000009144: 0B7574FA FF01560C
	v_mul_f32_dpp v187, v12, v187 row_newbcast:7 row_mask:0xf bank_mask:0xf// 00000000914C: 0B7776FA FF01570C
	v_mul_f32_e32 v184, v20, v184                              // 000000009154: 0B717114
	v_mul_f32_e32 v185, v20, v185                              // 000000009158: 0B737314
	v_mul_f32_e32 v186, v20, v186                              // 00000000915C: 0B757514
	v_mul_f32_e32 v187, v20, v187                              // 000000009160: 0B777714
	v_cvt_f32_i32_e32 v188, v188                               // 000000009164: 7F780BBC
	v_cvt_f32_i32_e32 v189, v189                               // 000000009168: 7F7A0BBD
	v_cvt_f32_i32_e32 v190, v190                               // 00000000916C: 7F7C0BBE
	v_cvt_f32_i32_e32 v191, v191                               // 000000009170: 7F7E0BBF
	v_mul_f32_e32 v188, v25, v188                              // 000000009174: 0B797919
	v_mul_f32_e32 v189, v25, v189                              // 000000009178: 0B7B7B19
	v_mul_f32_e32 v190, v25, v190                              // 00000000917C: 0B7D7D19
	v_mul_f32_e32 v191, v25, v191                              // 000000009180: 0B7F7F19
	v_mul_f32_dpp v188, v12, v188 row_newbcast:4 row_mask:0xf bank_mask:0xf// 000000009184: 0B7978FA FF01540C
	v_mul_f32_dpp v189, v12, v189 row_newbcast:5 row_mask:0xf bank_mask:0xf// 00000000918C: 0B7B7AFA FF01550C
	v_mul_f32_dpp v190, v12, v190 row_newbcast:6 row_mask:0xf bank_mask:0xf// 000000009194: 0B7D7CFA FF01560C
	v_mul_f32_dpp v191, v12, v191 row_newbcast:7 row_mask:0xf bank_mask:0xf// 00000000919C: 0B7F7EFA FF01570C
	v_mul_f32_e32 v188, v21, v188                              // 0000000091A4: 0B797915
	v_mul_f32_e32 v189, v21, v189                              // 0000000091A8: 0B7B7B15
	v_mul_f32_e32 v190, v21, v190                              // 0000000091AC: 0B7D7D15
	v_mul_f32_e32 v191, v21, v191                              // 0000000091B0: 0B7F7F15
	v_cvt_f32_i32_e32 v192, v192                               // 0000000091B4: 7F800BC0
	v_cvt_f32_i32_e32 v193, v193                               // 0000000091B8: 7F820BC1
	v_cvt_f32_i32_e32 v194, v194                               // 0000000091BC: 7F840BC2
	v_cvt_f32_i32_e32 v195, v195                               // 0000000091C0: 7F860BC3
	v_mul_f32_e32 v192, v24, v192                              // 0000000091C4: 0B818118
	v_mul_f32_e32 v193, v24, v193                              // 0000000091C8: 0B838318
	v_mul_f32_e32 v194, v24, v194                              // 0000000091CC: 0B858518
	v_mul_f32_e32 v195, v24, v195                              // 0000000091D0: 0B878718
	v_mul_f32_dpp v192, v12, v192 row_newbcast:8 row_mask:0xf bank_mask:0xf// 0000000091D4: 0B8180FA FF01580C
	v_mul_f32_dpp v193, v12, v193 row_newbcast:9 row_mask:0xf bank_mask:0xf// 0000000091DC: 0B8382FA FF01590C
	v_mul_f32_dpp v194, v12, v194 row_newbcast:10 row_mask:0xf bank_mask:0xf// 0000000091E4: 0B8584FA FF015A0C
	v_mul_f32_dpp v195, v12, v195 row_newbcast:11 row_mask:0xf bank_mask:0xf// 0000000091EC: 0B8786FA FF015B0C
	v_mul_f32_e32 v192, v20, v192                              // 0000000091F4: 0B818114
	v_mul_f32_e32 v193, v20, v193                              // 0000000091F8: 0B838314
	v_mul_f32_e32 v194, v20, v194                              // 0000000091FC: 0B858514
	v_mul_f32_e32 v195, v20, v195                              // 000000009200: 0B878714
	v_cvt_f32_i32_e32 v196, v196                               // 000000009204: 7F880BC4
	v_cvt_f32_i32_e32 v197, v197                               // 000000009208: 7F8A0BC5
	v_cvt_f32_i32_e32 v198, v198                               // 00000000920C: 7F8C0BC6
	v_cvt_f32_i32_e32 v199, v199                               // 000000009210: 7F8E0BC7
	v_mul_f32_e32 v196, v25, v196                              // 000000009214: 0B898919
	v_mul_f32_e32 v197, v25, v197                              // 000000009218: 0B8B8B19
	v_mul_f32_e32 v198, v25, v198                              // 00000000921C: 0B8D8D19
	v_mul_f32_e32 v199, v25, v199                              // 000000009220: 0B8F8F19
	v_mul_f32_dpp v196, v12, v196 row_newbcast:8 row_mask:0xf bank_mask:0xf// 000000009224: 0B8988FA FF01580C
	v_mul_f32_dpp v197, v12, v197 row_newbcast:9 row_mask:0xf bank_mask:0xf// 00000000922C: 0B8B8AFA FF01590C
	v_mul_f32_dpp v198, v12, v198 row_newbcast:10 row_mask:0xf bank_mask:0xf// 000000009234: 0B8D8CFA FF015A0C
	v_mul_f32_dpp v199, v12, v199 row_newbcast:11 row_mask:0xf bank_mask:0xf// 00000000923C: 0B8F8EFA FF015B0C
	v_mul_f32_e32 v196, v21, v196                              // 000000009244: 0B898915
	v_mul_f32_e32 v197, v21, v197                              // 000000009248: 0B8B8B15
	v_mul_f32_e32 v198, v21, v198                              // 00000000924C: 0B8D8D15
	v_mul_f32_e32 v199, v21, v199                              // 000000009250: 0B8F8F15
	v_cvt_f32_i32_e32 v200, v200                               // 000000009254: 7F900BC8
	v_cvt_f32_i32_e32 v201, v201                               // 000000009258: 7F920BC9
	v_cvt_f32_i32_e32 v202, v202                               // 00000000925C: 7F940BCA
	v_cvt_f32_i32_e32 v203, v203                               // 000000009260: 7F960BCB
	v_mul_f32_e32 v200, v24, v200                              // 000000009264: 0B919118
	v_mul_f32_e32 v201, v24, v201                              // 000000009268: 0B939318
	v_mul_f32_e32 v202, v24, v202                              // 00000000926C: 0B959518
	v_mul_f32_e32 v203, v24, v203                              // 000000009270: 0B979718
	v_mul_f32_dpp v200, v12, v200 row_newbcast:12 row_mask:0xf bank_mask:0xf// 000000009274: 0B9190FA FF015C0C
	v_mul_f32_dpp v201, v12, v201 row_newbcast:13 row_mask:0xf bank_mask:0xf// 00000000927C: 0B9392FA FF015D0C
	v_mul_f32_dpp v202, v12, v202 row_newbcast:14 row_mask:0xf bank_mask:0xf// 000000009284: 0B9594FA FF015E0C
	v_mul_f32_dpp v203, v12, v203 row_newbcast:15 row_mask:0xf bank_mask:0xf// 00000000928C: 0B9796FA FF015F0C
	v_mul_f32_e32 v200, v20, v200                              // 000000009294: 0B919114
	v_mul_f32_e32 v201, v20, v201                              // 000000009298: 0B939314
	v_mul_f32_e32 v202, v20, v202                              // 00000000929C: 0B959514
	v_mul_f32_e32 v203, v20, v203                              // 0000000092A0: 0B979714
	v_cvt_f32_i32_e32 v204, v204                               // 0000000092A4: 7F980BCC
	v_cvt_f32_i32_e32 v205, v205                               // 0000000092A8: 7F9A0BCD
	v_cvt_f32_i32_e32 v206, v206                               // 0000000092AC: 7F9C0BCE
	v_cvt_f32_i32_e32 v207, v207                               // 0000000092B0: 7F9E0BCF
	v_mul_f32_e32 v204, v25, v204                              // 0000000092B4: 0B999919
	v_mul_f32_e32 v205, v25, v205                              // 0000000092B8: 0B9B9B19
	v_mul_f32_e32 v206, v25, v206                              // 0000000092BC: 0B9D9D19
	v_mul_f32_e32 v207, v25, v207                              // 0000000092C0: 0B9F9F19
	v_mul_f32_dpp v204, v12, v204 row_newbcast:12 row_mask:0xf bank_mask:0xf// 0000000092C4: 0B9998FA FF015C0C
	v_mul_f32_dpp v205, v12, v205 row_newbcast:13 row_mask:0xf bank_mask:0xf// 0000000092CC: 0B9B9AFA FF015D0C
	v_mul_f32_dpp v206, v12, v206 row_newbcast:14 row_mask:0xf bank_mask:0xf// 0000000092D4: 0B9D9CFA FF015E0C
	v_mul_f32_dpp v207, v12, v207 row_newbcast:15 row_mask:0xf bank_mask:0xf// 0000000092DC: 0B9F9EFA FF015F0C
	v_mul_f32_e32 v204, v21, v204                              // 0000000092E4: 0B999915
	v_mul_f32_e32 v205, v21, v205                              // 0000000092E8: 0B9B9B15
	v_mul_f32_e32 v206, v21, v206                              // 0000000092EC: 0B9D9D15
	v_mul_f32_e32 v207, v21, v207                              // 0000000092F0: 0B9F9F15
	v_cmp_u_f32_e64 s[48:49], v176, v176                       // 0000000092F4: D0480030 000361B0
	v_add3_u32 v44, v176, v47, 1                               // 0000000092FC: D1FF002C 02065FB0
	v_cndmask_b32_e64 v48, v44, v46, s[48:49]                  // 000000009304: D1000030 00C25D2C
	v_cmp_u_f32_e64 s[48:49], v177, v177                       // 00000000930C: D0480030 000363B1
	v_add3_u32 v44, v177, v47, 1                               // 000000009314: D1FF002C 02065FB1
	v_cndmask_b32_e64 v49, v44, v46, s[48:49]                  // 00000000931C: D1000031 00C25D2C
	v_perm_b32 v176, v49, v48, s52                             // 000000009324: D1ED00B0 00D26131
	v_cmp_u_f32_e64 s[48:49], v178, v178                       // 00000000932C: D0480030 000365B2
	v_add3_u32 v44, v178, v47, 1                               // 000000009334: D1FF002C 02065FB2
	v_cndmask_b32_e64 v48, v44, v46, s[48:49]                  // 00000000933C: D1000030 00C25D2C
	v_cmp_u_f32_e64 s[48:49], v179, v179                       // 000000009344: D0480030 000367B3
	v_add3_u32 v44, v179, v47, 1                               // 00000000934C: D1FF002C 02065FB3
	v_cndmask_b32_e64 v49, v44, v46, s[48:49]                  // 000000009354: D1000031 00C25D2C
	v_perm_b32 v177, v49, v48, s52                             // 00000000935C: D1ED00B1 00D26131
	v_cmp_u_f32_e64 s[48:49], v180, v180                       // 000000009364: D0480030 000369B4
	v_add3_u32 v44, v180, v47, 1                               // 00000000936C: D1FF002C 02065FB4
	v_cndmask_b32_e64 v48, v44, v46, s[48:49]                  // 000000009374: D1000030 00C25D2C
	v_cmp_u_f32_e64 s[48:49], v181, v181                       // 00000000937C: D0480030 00036BB5
	v_add3_u32 v44, v181, v47, 1                               // 000000009384: D1FF002C 02065FB5
	v_cndmask_b32_e64 v49, v44, v46, s[48:49]                  // 00000000938C: D1000031 00C25D2C
	v_perm_b32 v178, v49, v48, s52                             // 000000009394: D1ED00B2 00D26131
	v_cmp_u_f32_e64 s[48:49], v182, v182                       // 00000000939C: D0480030 00036DB6
	v_add3_u32 v44, v182, v47, 1                               // 0000000093A4: D1FF002C 02065FB6
	v_cndmask_b32_e64 v48, v44, v46, s[48:49]                  // 0000000093AC: D1000030 00C25D2C
	v_cmp_u_f32_e64 s[48:49], v183, v183                       // 0000000093B4: D0480030 00036FB7
	v_add3_u32 v44, v183, v47, 1                               // 0000000093BC: D1FF002C 02065FB7
	v_cndmask_b32_e64 v49, v44, v46, s[48:49]                  // 0000000093C4: D1000031 00C25D2C
	v_perm_b32 v179, v49, v48, s52                             // 0000000093CC: D1ED00B3 00D26131
	v_cmp_u_f32_e64 s[48:49], v184, v184                       // 0000000093D4: D0480030 000371B8
	v_add3_u32 v44, v184, v47, 1                               // 0000000093DC: D1FF002C 02065FB8
	v_cndmask_b32_e64 v48, v44, v46, s[48:49]                  // 0000000093E4: D1000030 00C25D2C
	v_cmp_u_f32_e64 s[48:49], v185, v185                       // 0000000093EC: D0480030 000373B9
	v_add3_u32 v44, v185, v47, 1                               // 0000000093F4: D1FF002C 02065FB9
	v_cndmask_b32_e64 v49, v44, v46, s[48:49]                  // 0000000093FC: D1000031 00C25D2C
	v_perm_b32 v180, v49, v48, s52                             // 000000009404: D1ED00B4 00D26131
	v_cmp_u_f32_e64 s[48:49], v186, v186                       // 00000000940C: D0480030 000375BA
	v_add3_u32 v44, v186, v47, 1                               // 000000009414: D1FF002C 02065FBA
	v_cndmask_b32_e64 v48, v44, v46, s[48:49]                  // 00000000941C: D1000030 00C25D2C
	v_cmp_u_f32_e64 s[48:49], v187, v187                       // 000000009424: D0480030 000377BB
	v_add3_u32 v44, v187, v47, 1                               // 00000000942C: D1FF002C 02065FBB
	v_cndmask_b32_e64 v49, v44, v46, s[48:49]                  // 000000009434: D1000031 00C25D2C
	v_perm_b32 v181, v49, v48, s52                             // 00000000943C: D1ED00B5 00D26131
	v_cmp_u_f32_e64 s[48:49], v188, v188                       // 000000009444: D0480030 000379BC
	v_add3_u32 v44, v188, v47, 1                               // 00000000944C: D1FF002C 02065FBC
	v_cndmask_b32_e64 v48, v44, v46, s[48:49]                  // 000000009454: D1000030 00C25D2C
	v_cmp_u_f32_e64 s[48:49], v189, v189                       // 00000000945C: D0480030 00037BBD
	v_add3_u32 v44, v189, v47, 1                               // 000000009464: D1FF002C 02065FBD
	v_cndmask_b32_e64 v49, v44, v46, s[48:49]                  // 00000000946C: D1000031 00C25D2C
	v_perm_b32 v182, v49, v48, s52                             // 000000009474: D1ED00B6 00D26131
	v_cmp_u_f32_e64 s[48:49], v190, v190                       // 00000000947C: D0480030 00037DBE
	v_add3_u32 v44, v190, v47, 1                               // 000000009484: D1FF002C 02065FBE
	v_cndmask_b32_e64 v48, v44, v46, s[48:49]                  // 00000000948C: D1000030 00C25D2C
	v_cmp_u_f32_e64 s[48:49], v191, v191                       // 000000009494: D0480030 00037FBF
	v_add3_u32 v44, v191, v47, 1                               // 00000000949C: D1FF002C 02065FBF
	v_cndmask_b32_e64 v49, v44, v46, s[48:49]                  // 0000000094A4: D1000031 00C25D2C
	v_perm_b32 v183, v49, v48, s52                             // 0000000094AC: D1ED00B7 00D26131
	v_cmp_u_f32_e64 s[48:49], v192, v192                       // 0000000094B4: D0480030 000381C0
	v_add3_u32 v44, v192, v47, 1                               // 0000000094BC: D1FF002C 02065FC0
	v_cndmask_b32_e64 v48, v44, v46, s[48:49]                  // 0000000094C4: D1000030 00C25D2C
	v_cmp_u_f32_e64 s[48:49], v193, v193                       // 0000000094CC: D0480030 000383C1
	v_add3_u32 v44, v193, v47, 1                               // 0000000094D4: D1FF002C 02065FC1
	v_cndmask_b32_e64 v49, v44, v46, s[48:49]                  // 0000000094DC: D1000031 00C25D2C
	v_perm_b32 v184, v49, v48, s52                             // 0000000094E4: D1ED00B8 00D26131
	v_cmp_u_f32_e64 s[48:49], v194, v194                       // 0000000094EC: D0480030 000385C2
	v_add3_u32 v44, v194, v47, 1                               // 0000000094F4: D1FF002C 02065FC2
	v_cndmask_b32_e64 v48, v44, v46, s[48:49]                  // 0000000094FC: D1000030 00C25D2C
	v_cmp_u_f32_e64 s[48:49], v195, v195                       // 000000009504: D0480030 000387C3
	v_add3_u32 v44, v195, v47, 1                               // 00000000950C: D1FF002C 02065FC3
	v_cndmask_b32_e64 v49, v44, v46, s[48:49]                  // 000000009514: D1000031 00C25D2C
	v_perm_b32 v185, v49, v48, s52                             // 00000000951C: D1ED00B9 00D26131
	v_cmp_u_f32_e64 s[48:49], v196, v196                       // 000000009524: D0480030 000389C4
	v_add3_u32 v44, v196, v47, 1                               // 00000000952C: D1FF002C 02065FC4
	v_cndmask_b32_e64 v48, v44, v46, s[48:49]                  // 000000009534: D1000030 00C25D2C
	v_cmp_u_f32_e64 s[48:49], v197, v197                       // 00000000953C: D0480030 00038BC5
	v_add3_u32 v44, v197, v47, 1                               // 000000009544: D1FF002C 02065FC5
	v_cndmask_b32_e64 v49, v44, v46, s[48:49]                  // 00000000954C: D1000031 00C25D2C
	v_perm_b32 v186, v49, v48, s52                             // 000000009554: D1ED00BA 00D26131
	v_cmp_u_f32_e64 s[48:49], v198, v198                       // 00000000955C: D0480030 00038DC6
	v_add3_u32 v44, v198, v47, 1                               // 000000009564: D1FF002C 02065FC6
	v_cndmask_b32_e64 v48, v44, v46, s[48:49]                  // 00000000956C: D1000030 00C25D2C
	v_cmp_u_f32_e64 s[48:49], v199, v199                       // 000000009574: D0480030 00038FC7
	v_add3_u32 v44, v199, v47, 1                               // 00000000957C: D1FF002C 02065FC7
	v_cndmask_b32_e64 v49, v44, v46, s[48:49]                  // 000000009584: D1000031 00C25D2C
	v_perm_b32 v187, v49, v48, s52                             // 00000000958C: D1ED00BB 00D26131
	v_cmp_u_f32_e64 s[48:49], v200, v200                       // 000000009594: D0480030 000391C8
	v_add3_u32 v44, v200, v47, 1                               // 00000000959C: D1FF002C 02065FC8
	v_cndmask_b32_e64 v48, v44, v46, s[48:49]                  // 0000000095A4: D1000030 00C25D2C
	v_cmp_u_f32_e64 s[48:49], v201, v201                       // 0000000095AC: D0480030 000393C9
	v_add3_u32 v44, v201, v47, 1                               // 0000000095B4: D1FF002C 02065FC9
	v_cndmask_b32_e64 v49, v44, v46, s[48:49]                  // 0000000095BC: D1000031 00C25D2C
	v_perm_b32 v188, v49, v48, s52                             // 0000000095C4: D1ED00BC 00D26131
	v_cmp_u_f32_e64 s[48:49], v202, v202                       // 0000000095CC: D0480030 000395CA
	v_add3_u32 v44, v202, v47, 1                               // 0000000095D4: D1FF002C 02065FCA
	v_cndmask_b32_e64 v48, v44, v46, s[48:49]                  // 0000000095DC: D1000030 00C25D2C
	v_cmp_u_f32_e64 s[48:49], v203, v203                       // 0000000095E4: D0480030 000397CB
	v_add3_u32 v44, v203, v47, 1                               // 0000000095EC: D1FF002C 02065FCB
	v_cndmask_b32_e64 v49, v44, v46, s[48:49]                  // 0000000095F4: D1000031 00C25D2C
	v_perm_b32 v189, v49, v48, s52                             // 0000000095FC: D1ED00BD 00D26131
	v_cmp_u_f32_e64 s[48:49], v204, v204                       // 000000009604: D0480030 000399CC
	v_add3_u32 v44, v204, v47, 1                               // 00000000960C: D1FF002C 02065FCC
	v_cndmask_b32_e64 v48, v44, v46, s[48:49]                  // 000000009614: D1000030 00C25D2C
	v_cmp_u_f32_e64 s[48:49], v205, v205                       // 00000000961C: D0480030 00039BCD
	v_add3_u32 v44, v205, v47, 1                               // 000000009624: D1FF002C 02065FCD
	v_cndmask_b32_e64 v49, v44, v46, s[48:49]                  // 00000000962C: D1000031 00C25D2C
	v_perm_b32 v190, v49, v48, s52                             // 000000009634: D1ED00BE 00D26131
	v_cmp_u_f32_e64 s[48:49], v206, v206                       // 00000000963C: D0480030 00039DCE
	v_add3_u32 v44, v206, v47, 1                               // 000000009644: D1FF002C 02065FCE
	v_cndmask_b32_e64 v48, v44, v46, s[48:49]                  // 00000000964C: D1000030 00C25D2C
	v_cmp_u_f32_e64 s[48:49], v207, v207                       // 000000009654: D0480030 00039FCF
	v_add3_u32 v44, v207, v47, 1                               // 00000000965C: D1FF002C 02065FCF
	v_cndmask_b32_e64 v49, v44, v46, s[48:49]                  // 000000009664: D1000031 00C25D2C
	v_perm_b32 v191, v49, v48, s52                             // 00000000966C: D1ED00BF 00D26131
	ds_write_b64 v3, v[176:177] offset:30976                   // 000000009674: D89A7900 0000B003
	ds_write_b64 v3, v[178:179] offset:39680                   // 00000000967C: D89A9B00 0000B203
	ds_write_b64 v3, v[180:181] offset:33152                   // 000000009684: D89A8180 0000B403
	ds_write_b64 v3, v[182:183] offset:41856                   // 00000000968C: D89AA380 0000B603
	ds_write_b64 v3, v[184:185] offset:35328                   // 000000009694: D89A8A00 0000B803
	ds_write_b64 v3, v[186:187] offset:44032                   // 00000000969C: D89AAC00 0000BA03
	ds_write_b64 v3, v[188:189] offset:37504                   // 0000000096A4: D89A9280 0000BC03
	ds_write_b64 v3, v[190:191] offset:46208                   // 0000000096AC: D89AB480 0000BE03
	s_waitcnt lgkmcnt(0)                                       // 0000000096B4: BF8CC07F
	s_barrier                                                  // 0000000096B8: BF8A0000
	ds_read_b32 v64, v4 offset:30976                           // 0000000096BC: D86C7900 40000004
	ds_read_b32 v65, v4 offset:35328                           // 0000000096C4: D86C8A00 41000004
	ds_read_b32 v66, v4 offset:31008                           // 0000000096CC: D86C7920 42000004
	ds_read_b32 v67, v4 offset:35360                           // 0000000096D4: D86C8A20 43000004
	ds_read_b32 v68, v4 offset:31040                           // 0000000096DC: D86C7940 44000004
	ds_read_b32 v69, v4 offset:35392                           // 0000000096E4: D86C8A40 45000004
	ds_read_b32 v70, v4 offset:31072                           // 0000000096EC: D86C7960 46000004
	ds_read_b32 v71, v4 offset:35424                           // 0000000096F4: D86C8A60 47000004
	ds_read_b32 v72, v4 offset:39680                           // 0000000096FC: D86C9B00 48000004
	ds_read_b32 v73, v4 offset:44032                           // 000000009704: D86CAC00 49000004
	ds_read_b32 v74, v4 offset:39712                           // 00000000970C: D86C9B20 4A000004
	ds_read_b32 v75, v4 offset:44064                           // 000000009714: D86CAC20 4B000004
	ds_read_b32 v76, v4 offset:39744                           // 00000000971C: D86C9B40 4C000004
	ds_read_b32 v77, v4 offset:44096                           // 000000009724: D86CAC40 4D000004
	ds_read_b32 v78, v4 offset:39776                           // 00000000972C: D86C9B60 4E000004
	ds_read_b32 v79, v4 offset:44128                           // 000000009734: D86CAC60 4F000004
	s_waitcnt lgkmcnt(0)                                       // 00000000973C: BF8CC07F
	s_mov_b64 exec, s[20:21]                                   // 000000009740: BEFE0114
	global_atomic_pk_add_f16 v80, v64, s[8:9]                  // 000000009744: DD388000 00084050
	s_mov_b64 exec, s[36:37]                                   // 00000000974C: BEFE0124
	s_mov_b64 exec, s[20:21]                                   // 000000009750: BEFE0114
	global_atomic_pk_add_f16 v80, v65, s[8:9] offset:256       // 000000009754: DD388100 00084150
	s_mov_b64 exec, s[36:37]                                   // 00000000975C: BEFE0124
	s_mov_b64 exec, s[22:23]                                   // 000000009760: BEFE0116
	global_atomic_pk_add_f16 v82, v66, s[8:9]                  // 000000009764: DD388000 00084252
	s_mov_b64 exec, s[36:37]                                   // 00000000976C: BEFE0124
	s_mov_b64 exec, s[22:23]                                   // 000000009770: BEFE0116
	global_atomic_pk_add_f16 v82, v67, s[8:9] offset:256       // 000000009774: DD388100 00084352
	s_mov_b64 exec, s[36:37]                                   // 00000000977C: BEFE0124
	s_mov_b64 exec, s[24:25]                                   // 000000009780: BEFE0118
	global_atomic_pk_add_f16 v84, v68, s[8:9]                  // 000000009784: DD388000 00084454
	s_mov_b64 exec, s[36:37]                                   // 00000000978C: BEFE0124
	s_mov_b64 exec, s[24:25]                                   // 000000009790: BEFE0118
	global_atomic_pk_add_f16 v84, v69, s[8:9] offset:256       // 000000009794: DD388100 00084554
	s_mov_b64 exec, s[36:37]                                   // 00000000979C: BEFE0124
	s_mov_b64 exec, s[26:27]                                   // 0000000097A0: BEFE011A
	global_atomic_pk_add_f16 v86, v70, s[8:9]                  // 0000000097A4: DD388000 00084656
	s_mov_b64 exec, s[36:37]                                   // 0000000097AC: BEFE0124
	s_mov_b64 exec, s[26:27]                                   // 0000000097B0: BEFE011A
	global_atomic_pk_add_f16 v86, v71, s[8:9] offset:256       // 0000000097B4: DD388100 00084756
	s_mov_b64 exec, s[36:37]                                   // 0000000097BC: BEFE0124
	s_mov_b64 exec, s[28:29]                                   // 0000000097C0: BEFE011C
	global_atomic_pk_add_f16 v88, v72, s[8:9]                  // 0000000097C4: DD388000 00084858
	s_mov_b64 exec, s[36:37]                                   // 0000000097CC: BEFE0124
	s_mov_b64 exec, s[28:29]                                   // 0000000097D0: BEFE011C
	global_atomic_pk_add_f16 v88, v73, s[8:9] offset:256       // 0000000097D4: DD388100 00084958
	s_mov_b64 exec, s[36:37]                                   // 0000000097DC: BEFE0124
	s_mov_b64 exec, s[30:31]                                   // 0000000097E0: BEFE011E
	global_atomic_pk_add_f16 v90, v74, s[8:9]                  // 0000000097E4: DD388000 00084A5A
	s_mov_b64 exec, s[36:37]                                   // 0000000097EC: BEFE0124
	s_mov_b64 exec, s[30:31]                                   // 0000000097F0: BEFE011E
	global_atomic_pk_add_f16 v90, v75, s[8:9] offset:256       // 0000000097F4: DD388100 00084B5A
	s_mov_b64 exec, s[36:37]                                   // 0000000097FC: BEFE0124
	s_mov_b64 exec, s[32:33]                                   // 000000009800: BEFE0120
	global_atomic_pk_add_f16 v92, v76, s[8:9]                  // 000000009804: DD388000 00084C5C
	s_mov_b64 exec, s[36:37]                                   // 00000000980C: BEFE0124
	s_mov_b64 exec, s[32:33]                                   // 000000009810: BEFE0120
	global_atomic_pk_add_f16 v92, v77, s[8:9] offset:256       // 000000009814: DD388100 00084D5C
	s_mov_b64 exec, s[36:37]                                   // 00000000981C: BEFE0124
	s_mov_b64 exec, s[34:35]                                   // 000000009820: BEFE0122
	global_atomic_pk_add_f16 v94, v78, s[8:9]                  // 000000009824: DD388000 00084E5E
	s_mov_b64 exec, s[36:37]                                   // 00000000982C: BEFE0124
	s_mov_b64 exec, s[34:35]                                   // 000000009830: BEFE0122
	global_atomic_pk_add_f16 v94, v79, s[8:9] offset:256       // 000000009834: DD388100 00084F5E
	s_mov_b64 exec, s[36:37]                                   // 00000000983C: BEFE0124
	s_add_u32 s8, s59, s8                                      // 000000009840: 8008083B
	s_addc_u32 s9, 0, s9                                       // 000000009844: 82090980
	s_addk_i32 s80, 0x100                                      // 000000009848: B7500100
	s_cmp_lt_i32 s80, s81                                      // 00000000984C: BF045150
	s_cbranch_scc0 label_100D                                  // 000000009850: BF84F578
	s_waitcnt vmcnt(37)                                        // 000000009854: BF8C8F75
	s_barrier                                                  // 000000009858: BF8A0000
	v_mfma_i32_16x16x32_i8 v[208:211], a[96:97], v[128:129], 0 // 00000000985C: D3D700D0 0A030160
	buffer_load_dwordx4 a[0:3], v40, s[12:15], 0 offen         // 000000009864: E05C1000 80830028
	v_mfma_i32_16x16x32_i8 v[208:211], a[98:99], v[130:131], v[208:211]// 00000000986C: D3D700D0 0F430562
	v_mfma_i32_16x16x32_i8 v[212:215], a[96:97], v[152:153], 0 // 000000009874: D3D700D4 0A033160
	v_mfma_i32_16x16x32_i8 v[212:215], a[98:99], v[154:155], v[212:215]// 00000000987C: D3D700D4 0F533562
	v_mfma_i32_16x16x32_i8 v[216:219], a[100:101], v[128:129], 0// 000000009884: D3D700D8 0A030164
	buffer_load_dwordx4 a[4:7], v41, s[12:15], 0 offen         // 00000000988C: E05C1000 80830429
	v_mfma_i32_16x16x32_i8 v[216:219], a[102:103], v[130:131], v[216:219]// 000000009894: D3D700D8 0F630566
	v_mfma_i32_16x16x32_i8 v[220:223], a[100:101], v[152:153], 0// 00000000989C: D3D700DC 0A033164
	v_mfma_i32_16x16x32_i8 v[220:223], a[102:103], v[154:155], v[220:223]// 0000000098A4: D3D700DC 0F733566
	v_mfma_i32_16x16x32_i8 v[224:227], a[104:105], v[128:129], 0// 0000000098AC: D3D700E0 0A030168
	buffer_load_dwordx4 a[8:11], v42, s[12:15], 0 offen        // 0000000098B4: E05C1000 8083082A
	v_mfma_i32_16x16x32_i8 v[224:227], a[106:107], v[130:131], v[224:227]// 0000000098BC: D3D700E0 0F83056A
	v_mfma_i32_16x16x32_i8 v[228:231], a[104:105], v[152:153], 0// 0000000098C4: D3D700E4 0A033168
	v_mfma_i32_16x16x32_i8 v[228:231], a[106:107], v[154:155], v[228:231]// 0000000098CC: D3D700E4 0F93356A
	v_mfma_i32_16x16x32_i8 v[232:235], a[108:109], v[128:129], 0// 0000000098D4: D3D700E8 0A03016C
	buffer_load_dwordx4 a[12:15], v43, s[12:15], 0 offen       // 0000000098DC: E05C1000 80830C2B
	s_add_u32 s12, s78, s12                                    // 0000000098E4: 800C0C4E
	s_addc_u32 s13, 0, s13                                     // 0000000098E8: 820D0D80
	v_mfma_i32_16x16x32_i8 v[232:235], a[110:111], v[130:131], v[232:235]// 0000000098EC: D3D700E8 0FA3056E
	v_mfma_i32_16x16x32_i8 v[236:239], a[108:109], v[152:153], 0// 0000000098F4: D3D700EC 0A03316C
	v_mfma_i32_16x16x32_i8 v[236:239], a[110:111], v[154:155], v[236:239]// 0000000098FC: D3D700EC 0FB3356E
	s_waitcnt vmcnt(37)                                        // 000000009904: BF8C8F75
	v_mfma_i32_16x16x32_i8 v[208:211], a[112:113], v[132:133], v[208:211]// 000000009908: D3D700D0 0F430970
	buffer_load_dwordx4 a[16:19], v40, s[12:15], 0 offen       // 000000009910: E05C1000 80831028
	v_mfma_i32_16x16x32_i8 v[208:211], a[114:115], v[134:135], v[208:211]// 000000009918: D3D700D0 0F430D72
	v_mfma_i32_16x16x32_i8 v[212:215], a[112:113], v[156:157], v[212:215]// 000000009920: D3D700D4 0F533970
	v_mfma_i32_16x16x32_i8 v[212:215], a[114:115], v[158:159], v[212:215]// 000000009928: D3D700D4 0F533D72
	v_mfma_i32_16x16x32_i8 v[216:219], a[116:117], v[132:133], v[216:219]// 000000009930: D3D700D8 0F630974
	buffer_load_dwordx4 a[20:23], v41, s[12:15], 0 offen       // 000000009938: E05C1000 80831429
	v_mfma_i32_16x16x32_i8 v[216:219], a[118:119], v[134:135], v[216:219]// 000000009940: D3D700D8 0F630D76
	v_mfma_i32_16x16x32_i8 v[220:223], a[116:117], v[156:157], v[220:223]// 000000009948: D3D700DC 0F733974
	v_mfma_i32_16x16x32_i8 v[220:223], a[118:119], v[158:159], v[220:223]// 000000009950: D3D700DC 0F733D76
	v_mfma_i32_16x16x32_i8 v[224:227], a[120:121], v[132:133], v[224:227]// 000000009958: D3D700E0 0F830978
	buffer_load_dwordx4 a[24:27], v42, s[12:15], 0 offen       // 000000009960: E05C1000 8083182A
	v_mfma_i32_16x16x32_i8 v[224:227], a[122:123], v[134:135], v[224:227]// 000000009968: D3D700E0 0F830D7A
	v_mfma_i32_16x16x32_i8 v[228:231], a[120:121], v[156:157], v[228:231]// 000000009970: D3D700E4 0F933978
	v_mfma_i32_16x16x32_i8 v[228:231], a[122:123], v[158:159], v[228:231]// 000000009978: D3D700E4 0F933D7A
	v_mfma_i32_16x16x32_i8 v[232:235], a[124:125], v[132:133], v[232:235]// 000000009980: D3D700E8 0FA3097C
	buffer_load_dwordx4 a[28:31], v43, s[12:15], 0 offen       // 000000009988: E05C1000 80831C2B
	s_add_u32 s12, s78, s12                                    // 000000009990: 800C0C4E
	s_addc_u32 s13, 0, s13                                     // 000000009994: 820D0D80
	v_mfma_i32_16x16x32_i8 v[232:235], a[126:127], v[134:135], v[232:235]// 000000009998: D3D700E8 0FA30D7E
	v_mfma_i32_16x16x32_i8 v[236:239], a[124:125], v[156:157], v[236:239]// 0000000099A0: D3D700EC 0FB3397C
	v_mfma_i32_16x16x32_i8 v[236:239], a[126:127], v[158:159], v[236:239]// 0000000099A8: D3D700EC 0FB33D7E
	s_waitcnt vmcnt(37)                                        // 0000000099B0: BF8C8F75
	v_mfma_i32_16x16x32_i8 v[208:211], a[128:129], v[136:137], v[208:211]// 0000000099B4: D3D700D0 0F431180
	buffer_load_dwordx4 a[32:35], v40, s[12:15], 0 offen       // 0000000099BC: E05C1000 80832028
	v_mfma_i32_16x16x32_i8 v[208:211], a[130:131], v[138:139], v[208:211]// 0000000099C4: D3D700D0 0F431582
	v_mfma_i32_16x16x32_i8 v[212:215], a[128:129], v[160:161], v[212:215]// 0000000099CC: D3D700D4 0F534180
	v_mfma_i32_16x16x32_i8 v[212:215], a[130:131], v[162:163], v[212:215]// 0000000099D4: D3D700D4 0F534582
	v_mfma_i32_16x16x32_i8 v[216:219], a[132:133], v[136:137], v[216:219]// 0000000099DC: D3D700D8 0F631184
	buffer_load_dwordx4 a[36:39], v41, s[12:15], 0 offen       // 0000000099E4: E05C1000 80832429
	v_mfma_i32_16x16x32_i8 v[216:219], a[134:135], v[138:139], v[216:219]// 0000000099EC: D3D700D8 0F631586
	v_mfma_i32_16x16x32_i8 v[220:223], a[132:133], v[160:161], v[220:223]// 0000000099F4: D3D700DC 0F734184
	v_mfma_i32_16x16x32_i8 v[220:223], a[134:135], v[162:163], v[220:223]// 0000000099FC: D3D700DC 0F734586
	v_mfma_i32_16x16x32_i8 v[224:227], a[136:137], v[136:137], v[224:227]// 000000009A04: D3D700E0 0F831188
	buffer_load_dwordx4 a[40:43], v42, s[12:15], 0 offen       // 000000009A0C: E05C1000 8083282A
	v_mfma_i32_16x16x32_i8 v[224:227], a[138:139], v[138:139], v[224:227]// 000000009A14: D3D700E0 0F83158A
	v_mfma_i32_16x16x32_i8 v[228:231], a[136:137], v[160:161], v[228:231]// 000000009A1C: D3D700E4 0F934188
	v_mfma_i32_16x16x32_i8 v[228:231], a[138:139], v[162:163], v[228:231]// 000000009A24: D3D700E4 0F93458A
	v_mfma_i32_16x16x32_i8 v[232:235], a[140:141], v[136:137], v[232:235]// 000000009A2C: D3D700E8 0FA3118C
	buffer_load_dwordx4 a[44:47], v43, s[12:15], 0 offen       // 000000009A34: E05C1000 80832C2B
	s_add_u32 s12, s78, s12                                    // 000000009A3C: 800C0C4E
	s_addc_u32 s13, 0, s13                                     // 000000009A40: 820D0D80
	v_mfma_i32_16x16x32_i8 v[232:235], a[142:143], v[138:139], v[232:235]// 000000009A44: D3D700E8 0FA3158E
	v_mfma_i32_16x16x32_i8 v[236:239], a[140:141], v[160:161], v[236:239]// 000000009A4C: D3D700EC 0FB3418C
	v_mfma_i32_16x16x32_i8 v[236:239], a[142:143], v[162:163], v[236:239]// 000000009A54: D3D700EC 0FB3458E
	s_waitcnt vmcnt(37)                                        // 000000009A5C: BF8C8F75
	v_mfma_i32_16x16x32_i8 v[208:211], a[144:145], v[140:141], v[208:211]// 000000009A60: D3D700D0 0F431990
	buffer_load_dwordx4 a[48:51], v40, s[12:15], 0 offen       // 000000009A68: E05C1000 80833028
	v_mfma_i32_16x16x32_i8 v[208:211], a[146:147], v[142:143], v[208:211]// 000000009A70: D3D700D0 0F431D92
	v_mfma_i32_16x16x32_i8 v[212:215], a[144:145], v[164:165], v[212:215]// 000000009A78: D3D700D4 0F534990
	v_mfma_i32_16x16x32_i8 v[212:215], a[146:147], v[166:167], v[212:215]// 000000009A80: D3D700D4 0F534D92
	v_mfma_i32_16x16x32_i8 v[216:219], a[148:149], v[140:141], v[216:219]// 000000009A88: D3D700D8 0F631994
	buffer_load_dwordx4 a[52:55], v41, s[12:15], 0 offen       // 000000009A90: E05C1000 80833429
	v_mfma_i32_16x16x32_i8 v[216:219], a[150:151], v[142:143], v[216:219]// 000000009A98: D3D700D8 0F631D96
	v_mfma_i32_16x16x32_i8 v[220:223], a[148:149], v[164:165], v[220:223]// 000000009AA0: D3D700DC 0F734994
	v_mfma_i32_16x16x32_i8 v[220:223], a[150:151], v[166:167], v[220:223]// 000000009AA8: D3D700DC 0F734D96
	v_mfma_i32_16x16x32_i8 v[224:227], a[152:153], v[140:141], v[224:227]// 000000009AB0: D3D700E0 0F831998
	buffer_load_dwordx4 a[56:59], v42, s[12:15], 0 offen       // 000000009AB8: E05C1000 8083382A
	v_mfma_i32_16x16x32_i8 v[224:227], a[154:155], v[142:143], v[224:227]// 000000009AC0: D3D700E0 0F831D9A
	v_mfma_i32_16x16x32_i8 v[228:231], a[152:153], v[164:165], v[228:231]// 000000009AC8: D3D700E4 0F934998
	v_mfma_i32_16x16x32_i8 v[228:231], a[154:155], v[166:167], v[228:231]// 000000009AD0: D3D700E4 0F934D9A
	v_mfma_i32_16x16x32_i8 v[232:235], a[156:157], v[140:141], v[232:235]// 000000009AD8: D3D700E8 0FA3199C
	buffer_load_dwordx4 a[60:63], v43, s[12:15], 0 offen       // 000000009AE0: E05C1000 80833C2B
	s_add_u32 s12, s78, s12                                    // 000000009AE8: 800C0C4E
	s_addc_u32 s13, 0, s13                                     // 000000009AEC: 820D0D80
	v_mfma_i32_16x16x32_i8 v[232:235], a[158:159], v[142:143], v[232:235]// 000000009AF0: D3D700E8 0FA31D9E
	v_mfma_i32_16x16x32_i8 v[236:239], a[156:157], v[164:165], v[236:239]// 000000009AF8: D3D700EC 0FB3499C
	v_mfma_i32_16x16x32_i8 v[236:239], a[158:159], v[166:167], v[236:239]// 000000009B00: D3D700EC 0FB34D9E
	s_waitcnt vmcnt(37)                                        // 000000009B08: BF8C8F75
	v_mfma_i32_16x16x32_i8 v[208:211], a[160:161], v[144:145], v[208:211]// 000000009B0C: D3D700D0 0F4321A0
	buffer_load_dwordx4 a[64:67], v40, s[12:15], 0 offen       // 000000009B14: E05C1000 80834028
	v_mfma_i32_16x16x32_i8 v[208:211], a[162:163], v[146:147], v[208:211]// 000000009B1C: D3D700D0 0F4325A2
	v_mfma_i32_16x16x32_i8 v[212:215], a[160:161], v[168:169], v[212:215]// 000000009B24: D3D700D4 0F5351A0
	v_mfma_i32_16x16x32_i8 v[212:215], a[162:163], v[170:171], v[212:215]// 000000009B2C: D3D700D4 0F5355A2
	v_mfma_i32_16x16x32_i8 v[216:219], a[164:165], v[144:145], v[216:219]// 000000009B34: D3D700D8 0F6321A4
	buffer_load_dwordx4 a[68:71], v41, s[12:15], 0 offen       // 000000009B3C: E05C1000 80834429
	v_mfma_i32_16x16x32_i8 v[216:219], a[166:167], v[146:147], v[216:219]// 000000009B44: D3D700D8 0F6325A6
	v_mfma_i32_16x16x32_i8 v[220:223], a[164:165], v[168:169], v[220:223]// 000000009B4C: D3D700DC 0F7351A4
	v_mfma_i32_16x16x32_i8 v[220:223], a[166:167], v[170:171], v[220:223]// 000000009B54: D3D700DC 0F7355A6
	v_mfma_i32_16x16x32_i8 v[224:227], a[168:169], v[144:145], v[224:227]// 000000009B5C: D3D700E0 0F8321A8
	buffer_load_dwordx4 a[72:75], v42, s[12:15], 0 offen       // 000000009B64: E05C1000 8083482A
	v_mfma_i32_16x16x32_i8 v[224:227], a[170:171], v[146:147], v[224:227]// 000000009B6C: D3D700E0 0F8325AA
	v_mfma_i32_16x16x32_i8 v[228:231], a[168:169], v[168:169], v[228:231]// 000000009B74: D3D700E4 0F9351A8
	v_mfma_i32_16x16x32_i8 v[228:231], a[170:171], v[170:171], v[228:231]// 000000009B7C: D3D700E4 0F9355AA
	v_mfma_i32_16x16x32_i8 v[232:235], a[172:173], v[144:145], v[232:235]// 000000009B84: D3D700E8 0FA321AC
	buffer_load_dwordx4 a[76:79], v43, s[12:15], 0 offen       // 000000009B8C: E05C1000 80834C2B
	s_add_u32 s12, s78, s12                                    // 000000009B94: 800C0C4E
	s_addc_u32 s13, 0, s13                                     // 000000009B98: 820D0D80
	v_mfma_i32_16x16x32_i8 v[232:235], a[174:175], v[146:147], v[232:235]// 000000009B9C: D3D700E8 0FA325AE
	v_mfma_i32_16x16x32_i8 v[236:239], a[172:173], v[168:169], v[236:239]// 000000009BA4: D3D700EC 0FB351AC
	v_mfma_i32_16x16x32_i8 v[236:239], a[174:175], v[170:171], v[236:239]// 000000009BAC: D3D700EC 0FB355AE
	s_waitcnt vmcnt(36)                                        // 000000009BB4: BF8C8F74
	v_mfma_i32_16x16x32_i8 v[208:211], a[176:177], v[148:149], v[208:211]// 000000009BB8: D3D700D0 0F4329B0
	buffer_load_dwordx4 a[80:83], v40, s[12:15], 0 offen       // 000000009BC0: E05C1000 80835028
	v_mfma_i32_16x16x32_i8 v[208:211], a[178:179], v[150:151], v[208:211]// 000000009BC8: D3D700D0 0F432DB2
	v_mfma_i32_16x16x32_i8 v[212:215], a[176:177], v[172:173], v[212:215]// 000000009BD0: D3D700D4 0F5359B0
	buffer_load_dword v12, v5, s[16:19], 0 offen               // 000000009BD8: E0501000 80040C05
	v_mfma_i32_16x16x32_i8 v[212:215], a[178:179], v[174:175], v[212:215]// 000000009BE0: D3D700D4 0F535DB2
	v_mfma_i32_16x16x32_i8 v[216:219], a[180:181], v[148:149], v[216:219]// 000000009BE8: D3D700D8 0F6329B4
	buffer_load_dwordx4 a[84:87], v41, s[12:15], 0 offen       // 000000009BF0: E05C1000 80835429
	v_mfma_i32_16x16x32_i8 v[216:219], a[182:183], v[150:151], v[216:219]// 000000009BF8: D3D700D8 0F632DB6
	v_mfma_i32_16x16x32_i8 v[220:223], a[180:181], v[172:173], v[220:223]// 000000009C00: D3D700DC 0F7359B4
	v_mfma_i32_16x16x32_i8 v[220:223], a[182:183], v[174:175], v[220:223]// 000000009C08: D3D700DC 0F735DB6
	v_mfma_i32_16x16x32_i8 v[224:227], a[184:185], v[148:149], v[224:227]// 000000009C10: D3D700E0 0F8329B8
	buffer_load_dwordx4 a[88:91], v42, s[12:15], 0 offen       // 000000009C18: E05C1000 8083582A
	v_mfma_i32_16x16x32_i8 v[224:227], a[186:187], v[150:151], v[224:227]// 000000009C20: D3D700E0 0F832DBA
	v_mfma_i32_16x16x32_i8 v[228:231], a[184:185], v[172:173], v[228:231]// 000000009C28: D3D700E4 0F9359B8
	v_mfma_i32_16x16x32_i8 v[228:231], a[186:187], v[174:175], v[228:231]// 000000009C30: D3D700E4 0F935DBA
	v_mfma_i32_16x16x32_i8 v[232:235], a[188:189], v[148:149], v[232:235]// 000000009C38: D3D700E8 0FA329BC
	buffer_load_dwordx4 a[92:95], v43, s[12:15], 0 offen       // 000000009C40: E05C1000 80835C2B
	v_mfma_i32_16x16x32_i8 v[232:235], a[190:191], v[150:151], v[232:235]// 000000009C48: D3D700E8 0FA32DBE
	v_mfma_i32_16x16x32_i8 v[236:239], a[188:189], v[172:173], v[236:239]// 000000009C50: D3D700EC 0FB359BC
	v_mfma_i32_16x16x32_i8 v[236:239], a[190:191], v[174:175], v[236:239]// 000000009C58: D3D700EC 0FB35DBE
	s_add_u32 s60, 0x200, s80                                  // 000000009C60: 803C50FF 00000200
	s_cmp_lt_u32 s60, s81                                      // 000000009C68: BF0A513C
	s_cselect_b32 s56, s56, 0                                  // 000000009C6C: 85388038
	s_cselect_b32 s78, s78, 0                                  // 000000009C70: 854E804E
	s_cselect_b32 s79, s79, 0                                  // 000000009C74: 854F804F
	s_add_u32 s12, s56, s12                                    // 000000009C78: 800C0C38
	s_addc_u32 s13, 0, s13                                     // 000000009C7C: 820D0D80
	s_add_u32 s16, s79, s16                                    // 000000009C80: 8010104F
	s_addc_u32 s17, 0, s17                                     // 000000009C84: 82111180
	v_cvt_f32_i32_e32 v208, v208                               // 000000009C88: 7FA00BD0
	v_cvt_f32_i32_e32 v209, v209                               // 000000009C8C: 7FA20BD1
	v_cvt_f32_i32_e32 v210, v210                               // 000000009C90: 7FA40BD2
	v_cvt_f32_i32_e32 v211, v211                               // 000000009C94: 7FA60BD3
	v_mul_f32_e32 v208, v24, v208                              // 000000009C98: 0BA1A118
	v_mul_f32_e32 v209, v24, v209                              // 000000009C9C: 0BA3A318
	v_mul_f32_e32 v210, v24, v210                              // 000000009CA0: 0BA5A518
	v_mul_f32_e32 v211, v24, v211                              // 000000009CA4: 0BA7A718
	v_mul_f32_dpp v208, v13, v208 row_newbcast:0 row_mask:0xf bank_mask:0xf// 000000009CA8: 0BA1A0FA FF01500D
	v_mul_f32_dpp v209, v13, v209 row_newbcast:1 row_mask:0xf bank_mask:0xf// 000000009CB0: 0BA3A2FA FF01510D
	v_mul_f32_dpp v210, v13, v210 row_newbcast:2 row_mask:0xf bank_mask:0xf// 000000009CB8: 0BA5A4FA FF01520D
	v_mul_f32_dpp v211, v13, v211 row_newbcast:3 row_mask:0xf bank_mask:0xf// 000000009CC0: 0BA7A6FA FF01530D
	v_mul_f32_e32 v208, v20, v208                              // 000000009CC8: 0BA1A114
	v_mul_f32_e32 v209, v20, v209                              // 000000009CCC: 0BA3A314
	v_mul_f32_e32 v210, v20, v210                              // 000000009CD0: 0BA5A514
	v_mul_f32_e32 v211, v20, v211                              // 000000009CD4: 0BA7A714
	v_cvt_f32_i32_e32 v212, v212                               // 000000009CD8: 7FA80BD4
	v_cvt_f32_i32_e32 v213, v213                               // 000000009CDC: 7FAA0BD5
	v_cvt_f32_i32_e32 v214, v214                               // 000000009CE0: 7FAC0BD6
	v_cvt_f32_i32_e32 v215, v215                               // 000000009CE4: 7FAE0BD7
	v_mul_f32_e32 v212, v25, v212                              // 000000009CE8: 0BA9A919
	v_mul_f32_e32 v213, v25, v213                              // 000000009CEC: 0BABAB19
	v_mul_f32_e32 v214, v25, v214                              // 000000009CF0: 0BADAD19
	v_mul_f32_e32 v215, v25, v215                              // 000000009CF4: 0BAFAF19
	v_mul_f32_dpp v212, v13, v212 row_newbcast:0 row_mask:0xf bank_mask:0xf// 000000009CF8: 0BA9A8FA FF01500D
	v_mul_f32_dpp v213, v13, v213 row_newbcast:1 row_mask:0xf bank_mask:0xf// 000000009D00: 0BABAAFA FF01510D
	v_mul_f32_dpp v214, v13, v214 row_newbcast:2 row_mask:0xf bank_mask:0xf// 000000009D08: 0BADACFA FF01520D
	v_mul_f32_dpp v215, v13, v215 row_newbcast:3 row_mask:0xf bank_mask:0xf// 000000009D10: 0BAFAEFA FF01530D
	v_mul_f32_e32 v212, v21, v212                              // 000000009D18: 0BA9A915
	v_mul_f32_e32 v213, v21, v213                              // 000000009D1C: 0BABAB15
	v_mul_f32_e32 v214, v21, v214                              // 000000009D20: 0BADAD15
	v_mul_f32_e32 v215, v21, v215                              // 000000009D24: 0BAFAF15
	v_cvt_f32_i32_e32 v216, v216                               // 000000009D28: 7FB00BD8
	v_cvt_f32_i32_e32 v217, v217                               // 000000009D2C: 7FB20BD9
	v_cvt_f32_i32_e32 v218, v218                               // 000000009D30: 7FB40BDA
	v_cvt_f32_i32_e32 v219, v219                               // 000000009D34: 7FB60BDB
	v_mul_f32_e32 v216, v24, v216                              // 000000009D38: 0BB1B118
	v_mul_f32_e32 v217, v24, v217                              // 000000009D3C: 0BB3B318
	v_mul_f32_e32 v218, v24, v218                              // 000000009D40: 0BB5B518
	v_mul_f32_e32 v219, v24, v219                              // 000000009D44: 0BB7B718
	v_mul_f32_dpp v216, v13, v216 row_newbcast:4 row_mask:0xf bank_mask:0xf// 000000009D48: 0BB1B0FA FF01540D
	v_mul_f32_dpp v217, v13, v217 row_newbcast:5 row_mask:0xf bank_mask:0xf// 000000009D50: 0BB3B2FA FF01550D
	v_mul_f32_dpp v218, v13, v218 row_newbcast:6 row_mask:0xf bank_mask:0xf// 000000009D58: 0BB5B4FA FF01560D
	v_mul_f32_dpp v219, v13, v219 row_newbcast:7 row_mask:0xf bank_mask:0xf// 000000009D60: 0BB7B6FA FF01570D
	v_mul_f32_e32 v216, v20, v216                              // 000000009D68: 0BB1B114
	v_mul_f32_e32 v217, v20, v217                              // 000000009D6C: 0BB3B314
	v_mul_f32_e32 v218, v20, v218                              // 000000009D70: 0BB5B514
	v_mul_f32_e32 v219, v20, v219                              // 000000009D74: 0BB7B714
	v_cvt_f32_i32_e32 v220, v220                               // 000000009D78: 7FB80BDC
	v_cvt_f32_i32_e32 v221, v221                               // 000000009D7C: 7FBA0BDD
	v_cvt_f32_i32_e32 v222, v222                               // 000000009D80: 7FBC0BDE
	v_cvt_f32_i32_e32 v223, v223                               // 000000009D84: 7FBE0BDF
	v_mul_f32_e32 v220, v25, v220                              // 000000009D88: 0BB9B919
	v_mul_f32_e32 v221, v25, v221                              // 000000009D8C: 0BBBBB19
	v_mul_f32_e32 v222, v25, v222                              // 000000009D90: 0BBDBD19
	v_mul_f32_e32 v223, v25, v223                              // 000000009D94: 0BBFBF19
	v_mul_f32_dpp v220, v13, v220 row_newbcast:4 row_mask:0xf bank_mask:0xf// 000000009D98: 0BB9B8FA FF01540D
	v_mul_f32_dpp v221, v13, v221 row_newbcast:5 row_mask:0xf bank_mask:0xf// 000000009DA0: 0BBBBAFA FF01550D
	v_mul_f32_dpp v222, v13, v222 row_newbcast:6 row_mask:0xf bank_mask:0xf// 000000009DA8: 0BBDBCFA FF01560D
	v_mul_f32_dpp v223, v13, v223 row_newbcast:7 row_mask:0xf bank_mask:0xf// 000000009DB0: 0BBFBEFA FF01570D
	v_mul_f32_e32 v220, v21, v220                              // 000000009DB8: 0BB9B915
	v_mul_f32_e32 v221, v21, v221                              // 000000009DBC: 0BBBBB15
	v_mul_f32_e32 v222, v21, v222                              // 000000009DC0: 0BBDBD15
	v_mul_f32_e32 v223, v21, v223                              // 000000009DC4: 0BBFBF15
	v_cvt_f32_i32_e32 v224, v224                               // 000000009DC8: 7FC00BE0
	v_cvt_f32_i32_e32 v225, v225                               // 000000009DCC: 7FC20BE1
	v_cvt_f32_i32_e32 v226, v226                               // 000000009DD0: 7FC40BE2
	v_cvt_f32_i32_e32 v227, v227                               // 000000009DD4: 7FC60BE3
	v_mul_f32_e32 v224, v24, v224                              // 000000009DD8: 0BC1C118
	v_mul_f32_e32 v225, v24, v225                              // 000000009DDC: 0BC3C318
	v_mul_f32_e32 v226, v24, v226                              // 000000009DE0: 0BC5C518
	v_mul_f32_e32 v227, v24, v227                              // 000000009DE4: 0BC7C718
	v_mul_f32_dpp v224, v13, v224 row_newbcast:8 row_mask:0xf bank_mask:0xf// 000000009DE8: 0BC1C0FA FF01580D
	v_mul_f32_dpp v225, v13, v225 row_newbcast:9 row_mask:0xf bank_mask:0xf// 000000009DF0: 0BC3C2FA FF01590D
	v_mul_f32_dpp v226, v13, v226 row_newbcast:10 row_mask:0xf bank_mask:0xf// 000000009DF8: 0BC5C4FA FF015A0D
	v_mul_f32_dpp v227, v13, v227 row_newbcast:11 row_mask:0xf bank_mask:0xf// 000000009E00: 0BC7C6FA FF015B0D
	v_mul_f32_e32 v224, v20, v224                              // 000000009E08: 0BC1C114
	v_mul_f32_e32 v225, v20, v225                              // 000000009E0C: 0BC3C314
	v_mul_f32_e32 v226, v20, v226                              // 000000009E10: 0BC5C514
	v_mul_f32_e32 v227, v20, v227                              // 000000009E14: 0BC7C714
	v_cvt_f32_i32_e32 v228, v228                               // 000000009E18: 7FC80BE4
	v_cvt_f32_i32_e32 v229, v229                               // 000000009E1C: 7FCA0BE5
	v_cvt_f32_i32_e32 v230, v230                               // 000000009E20: 7FCC0BE6
	v_cvt_f32_i32_e32 v231, v231                               // 000000009E24: 7FCE0BE7
	v_mul_f32_e32 v228, v25, v228                              // 000000009E28: 0BC9C919
	v_mul_f32_e32 v229, v25, v229                              // 000000009E2C: 0BCBCB19
	v_mul_f32_e32 v230, v25, v230                              // 000000009E30: 0BCDCD19
	v_mul_f32_e32 v231, v25, v231                              // 000000009E34: 0BCFCF19
	v_mul_f32_dpp v228, v13, v228 row_newbcast:8 row_mask:0xf bank_mask:0xf// 000000009E38: 0BC9C8FA FF01580D
	v_mul_f32_dpp v229, v13, v229 row_newbcast:9 row_mask:0xf bank_mask:0xf// 000000009E40: 0BCBCAFA FF01590D
	v_mul_f32_dpp v230, v13, v230 row_newbcast:10 row_mask:0xf bank_mask:0xf// 000000009E48: 0BCDCCFA FF015A0D
	v_mul_f32_dpp v231, v13, v231 row_newbcast:11 row_mask:0xf bank_mask:0xf// 000000009E50: 0BCFCEFA FF015B0D
	v_mul_f32_e32 v228, v21, v228                              // 000000009E58: 0BC9C915
	v_mul_f32_e32 v229, v21, v229                              // 000000009E5C: 0BCBCB15
	v_mul_f32_e32 v230, v21, v230                              // 000000009E60: 0BCDCD15
	v_mul_f32_e32 v231, v21, v231                              // 000000009E64: 0BCFCF15
	v_cvt_f32_i32_e32 v232, v232                               // 000000009E68: 7FD00BE8
	v_cvt_f32_i32_e32 v233, v233                               // 000000009E6C: 7FD20BE9
	v_cvt_f32_i32_e32 v234, v234                               // 000000009E70: 7FD40BEA
	v_cvt_f32_i32_e32 v235, v235                               // 000000009E74: 7FD60BEB
	v_mul_f32_e32 v232, v24, v232                              // 000000009E78: 0BD1D118
	v_mul_f32_e32 v233, v24, v233                              // 000000009E7C: 0BD3D318
	v_mul_f32_e32 v234, v24, v234                              // 000000009E80: 0BD5D518
	v_mul_f32_e32 v235, v24, v235                              // 000000009E84: 0BD7D718
	v_mul_f32_dpp v232, v13, v232 row_newbcast:12 row_mask:0xf bank_mask:0xf// 000000009E88: 0BD1D0FA FF015C0D
	v_mul_f32_dpp v233, v13, v233 row_newbcast:13 row_mask:0xf bank_mask:0xf// 000000009E90: 0BD3D2FA FF015D0D
	v_mul_f32_dpp v234, v13, v234 row_newbcast:14 row_mask:0xf bank_mask:0xf// 000000009E98: 0BD5D4FA FF015E0D
	v_mul_f32_dpp v235, v13, v235 row_newbcast:15 row_mask:0xf bank_mask:0xf// 000000009EA0: 0BD7D6FA FF015F0D
	v_mul_f32_e32 v232, v20, v232                              // 000000009EA8: 0BD1D114
	v_mul_f32_e32 v233, v20, v233                              // 000000009EAC: 0BD3D314
	v_mul_f32_e32 v234, v20, v234                              // 000000009EB0: 0BD5D514
	v_mul_f32_e32 v235, v20, v235                              // 000000009EB4: 0BD7D714
	v_cvt_f32_i32_e32 v236, v236                               // 000000009EB8: 7FD80BEC
	v_cvt_f32_i32_e32 v237, v237                               // 000000009EBC: 7FDA0BED
	v_cvt_f32_i32_e32 v238, v238                               // 000000009EC0: 7FDC0BEE
	v_cvt_f32_i32_e32 v239, v239                               // 000000009EC4: 7FDE0BEF
	v_mul_f32_e32 v236, v25, v236                              // 000000009EC8: 0BD9D919
	v_mul_f32_e32 v237, v25, v237                              // 000000009ECC: 0BDBDB19
	v_mul_f32_e32 v238, v25, v238                              // 000000009ED0: 0BDDDD19
	v_mul_f32_e32 v239, v25, v239                              // 000000009ED4: 0BDFDF19
	v_mul_f32_dpp v236, v13, v236 row_newbcast:12 row_mask:0xf bank_mask:0xf// 000000009ED8: 0BD9D8FA FF015C0D
	v_mul_f32_dpp v237, v13, v237 row_newbcast:13 row_mask:0xf bank_mask:0xf// 000000009EE0: 0BDBDAFA FF015D0D
	v_mul_f32_dpp v238, v13, v238 row_newbcast:14 row_mask:0xf bank_mask:0xf// 000000009EE8: 0BDDDCFA FF015E0D
	v_mul_f32_dpp v239, v13, v239 row_newbcast:15 row_mask:0xf bank_mask:0xf// 000000009EF0: 0BDFDEFA FF015F0D
	v_mul_f32_e32 v236, v21, v236                              // 000000009EF8: 0BD9D915
	v_mul_f32_e32 v237, v21, v237                              // 000000009EFC: 0BDBDB15
	v_mul_f32_e32 v238, v21, v238                              // 000000009F00: 0BDDDD15
	v_mul_f32_e32 v239, v21, v239                              // 000000009F04: 0BDFDF15
	v_cmp_u_f32_e64 s[48:49], v208, v208                       // 000000009F08: D0480030 0003A1D0
	v_add3_u32 v44, v208, v47, 1                               // 000000009F10: D1FF002C 02065FD0
	v_cndmask_b32_e64 v48, v44, v46, s[48:49]                  // 000000009F18: D1000030 00C25D2C
	v_cmp_u_f32_e64 s[48:49], v209, v209                       // 000000009F20: D0480030 0003A3D1
	v_add3_u32 v44, v209, v47, 1                               // 000000009F28: D1FF002C 02065FD1
	v_cndmask_b32_e64 v49, v44, v46, s[48:49]                  // 000000009F30: D1000031 00C25D2C
	v_perm_b32 v208, v49, v48, s52                             // 000000009F38: D1ED00D0 00D26131
	v_cmp_u_f32_e64 s[48:49], v210, v210                       // 000000009F40: D0480030 0003A5D2
	v_add3_u32 v44, v210, v47, 1                               // 000000009F48: D1FF002C 02065FD2
	v_cndmask_b32_e64 v48, v44, v46, s[48:49]                  // 000000009F50: D1000030 00C25D2C
	v_cmp_u_f32_e64 s[48:49], v211, v211                       // 000000009F58: D0480030 0003A7D3
	v_add3_u32 v44, v211, v47, 1                               // 000000009F60: D1FF002C 02065FD3
	v_cndmask_b32_e64 v49, v44, v46, s[48:49]                  // 000000009F68: D1000031 00C25D2C
	v_perm_b32 v209, v49, v48, s52                             // 000000009F70: D1ED00D1 00D26131
	v_cmp_u_f32_e64 s[48:49], v212, v212                       // 000000009F78: D0480030 0003A9D4
	v_add3_u32 v44, v212, v47, 1                               // 000000009F80: D1FF002C 02065FD4
	v_cndmask_b32_e64 v48, v44, v46, s[48:49]                  // 000000009F88: D1000030 00C25D2C
	v_cmp_u_f32_e64 s[48:49], v213, v213                       // 000000009F90: D0480030 0003ABD5
	v_add3_u32 v44, v213, v47, 1                               // 000000009F98: D1FF002C 02065FD5
	v_cndmask_b32_e64 v49, v44, v46, s[48:49]                  // 000000009FA0: D1000031 00C25D2C
	v_perm_b32 v210, v49, v48, s52                             // 000000009FA8: D1ED00D2 00D26131
	v_cmp_u_f32_e64 s[48:49], v214, v214                       // 000000009FB0: D0480030 0003ADD6
	v_add3_u32 v44, v214, v47, 1                               // 000000009FB8: D1FF002C 02065FD6
	v_cndmask_b32_e64 v48, v44, v46, s[48:49]                  // 000000009FC0: D1000030 00C25D2C
	v_cmp_u_f32_e64 s[48:49], v215, v215                       // 000000009FC8: D0480030 0003AFD7
	v_add3_u32 v44, v215, v47, 1                               // 000000009FD0: D1FF002C 02065FD7
	v_cndmask_b32_e64 v49, v44, v46, s[48:49]                  // 000000009FD8: D1000031 00C25D2C
	v_perm_b32 v211, v49, v48, s52                             // 000000009FE0: D1ED00D3 00D26131
	v_cmp_u_f32_e64 s[48:49], v216, v216                       // 000000009FE8: D0480030 0003B1D8
	v_add3_u32 v44, v216, v47, 1                               // 000000009FF0: D1FF002C 02065FD8
	v_cndmask_b32_e64 v48, v44, v46, s[48:49]                  // 000000009FF8: D1000030 00C25D2C
	v_cmp_u_f32_e64 s[48:49], v217, v217                       // 00000000A000: D0480030 0003B3D9
	v_add3_u32 v44, v217, v47, 1                               // 00000000A008: D1FF002C 02065FD9
	v_cndmask_b32_e64 v49, v44, v46, s[48:49]                  // 00000000A010: D1000031 00C25D2C
	v_perm_b32 v212, v49, v48, s52                             // 00000000A018: D1ED00D4 00D26131
	v_cmp_u_f32_e64 s[48:49], v218, v218                       // 00000000A020: D0480030 0003B5DA
	v_add3_u32 v44, v218, v47, 1                               // 00000000A028: D1FF002C 02065FDA
	v_cndmask_b32_e64 v48, v44, v46, s[48:49]                  // 00000000A030: D1000030 00C25D2C
	v_cmp_u_f32_e64 s[48:49], v219, v219                       // 00000000A038: D0480030 0003B7DB
	v_add3_u32 v44, v219, v47, 1                               // 00000000A040: D1FF002C 02065FDB
	v_cndmask_b32_e64 v49, v44, v46, s[48:49]                  // 00000000A048: D1000031 00C25D2C
	v_perm_b32 v213, v49, v48, s52                             // 00000000A050: D1ED00D5 00D26131
	v_cmp_u_f32_e64 s[48:49], v220, v220                       // 00000000A058: D0480030 0003B9DC
	v_add3_u32 v44, v220, v47, 1                               // 00000000A060: D1FF002C 02065FDC
	v_cndmask_b32_e64 v48, v44, v46, s[48:49]                  // 00000000A068: D1000030 00C25D2C
	v_cmp_u_f32_e64 s[48:49], v221, v221                       // 00000000A070: D0480030 0003BBDD
	v_add3_u32 v44, v221, v47, 1                               // 00000000A078: D1FF002C 02065FDD
	v_cndmask_b32_e64 v49, v44, v46, s[48:49]                  // 00000000A080: D1000031 00C25D2C
	v_perm_b32 v214, v49, v48, s52                             // 00000000A088: D1ED00D6 00D26131
	v_cmp_u_f32_e64 s[48:49], v222, v222                       // 00000000A090: D0480030 0003BDDE
	v_add3_u32 v44, v222, v47, 1                               // 00000000A098: D1FF002C 02065FDE
	v_cndmask_b32_e64 v48, v44, v46, s[48:49]                  // 00000000A0A0: D1000030 00C25D2C
	v_cmp_u_f32_e64 s[48:49], v223, v223                       // 00000000A0A8: D0480030 0003BFDF
	v_add3_u32 v44, v223, v47, 1                               // 00000000A0B0: D1FF002C 02065FDF
	v_cndmask_b32_e64 v49, v44, v46, s[48:49]                  // 00000000A0B8: D1000031 00C25D2C
	v_perm_b32 v215, v49, v48, s52                             // 00000000A0C0: D1ED00D7 00D26131
	v_cmp_u_f32_e64 s[48:49], v224, v224                       // 00000000A0C8: D0480030 0003C1E0
	v_add3_u32 v44, v224, v47, 1                               // 00000000A0D0: D1FF002C 02065FE0
	v_cndmask_b32_e64 v48, v44, v46, s[48:49]                  // 00000000A0D8: D1000030 00C25D2C
	v_cmp_u_f32_e64 s[48:49], v225, v225                       // 00000000A0E0: D0480030 0003C3E1
	v_add3_u32 v44, v225, v47, 1                               // 00000000A0E8: D1FF002C 02065FE1
	v_cndmask_b32_e64 v49, v44, v46, s[48:49]                  // 00000000A0F0: D1000031 00C25D2C
	v_perm_b32 v216, v49, v48, s52                             // 00000000A0F8: D1ED00D8 00D26131
	v_cmp_u_f32_e64 s[48:49], v226, v226                       // 00000000A100: D0480030 0003C5E2
	v_add3_u32 v44, v226, v47, 1                               // 00000000A108: D1FF002C 02065FE2
	v_cndmask_b32_e64 v48, v44, v46, s[48:49]                  // 00000000A110: D1000030 00C25D2C
	v_cmp_u_f32_e64 s[48:49], v227, v227                       // 00000000A118: D0480030 0003C7E3
	v_add3_u32 v44, v227, v47, 1                               // 00000000A120: D1FF002C 02065FE3
	v_cndmask_b32_e64 v49, v44, v46, s[48:49]                  // 00000000A128: D1000031 00C25D2C
	v_perm_b32 v217, v49, v48, s52                             // 00000000A130: D1ED00D9 00D26131
	v_cmp_u_f32_e64 s[48:49], v228, v228                       // 00000000A138: D0480030 0003C9E4
	v_add3_u32 v44, v228, v47, 1                               // 00000000A140: D1FF002C 02065FE4
	v_cndmask_b32_e64 v48, v44, v46, s[48:49]                  // 00000000A148: D1000030 00C25D2C
	v_cmp_u_f32_e64 s[48:49], v229, v229                       // 00000000A150: D0480030 0003CBE5
	v_add3_u32 v44, v229, v47, 1                               // 00000000A158: D1FF002C 02065FE5
	v_cndmask_b32_e64 v49, v44, v46, s[48:49]                  // 00000000A160: D1000031 00C25D2C
	v_perm_b32 v218, v49, v48, s52                             // 00000000A168: D1ED00DA 00D26131
	v_cmp_u_f32_e64 s[48:49], v230, v230                       // 00000000A170: D0480030 0003CDE6
	v_add3_u32 v44, v230, v47, 1                               // 00000000A178: D1FF002C 02065FE6
	v_cndmask_b32_e64 v48, v44, v46, s[48:49]                  // 00000000A180: D1000030 00C25D2C
	v_cmp_u_f32_e64 s[48:49], v231, v231                       // 00000000A188: D0480030 0003CFE7
	v_add3_u32 v44, v231, v47, 1                               // 00000000A190: D1FF002C 02065FE7
	v_cndmask_b32_e64 v49, v44, v46, s[48:49]                  // 00000000A198: D1000031 00C25D2C
	v_perm_b32 v219, v49, v48, s52                             // 00000000A1A0: D1ED00DB 00D26131
	v_cmp_u_f32_e64 s[48:49], v232, v232                       // 00000000A1A8: D0480030 0003D1E8
	v_add3_u32 v44, v232, v47, 1                               // 00000000A1B0: D1FF002C 02065FE8
	v_cndmask_b32_e64 v48, v44, v46, s[48:49]                  // 00000000A1B8: D1000030 00C25D2C
	v_cmp_u_f32_e64 s[48:49], v233, v233                       // 00000000A1C0: D0480030 0003D3E9
	v_add3_u32 v44, v233, v47, 1                               // 00000000A1C8: D1FF002C 02065FE9
	v_cndmask_b32_e64 v49, v44, v46, s[48:49]                  // 00000000A1D0: D1000031 00C25D2C
	v_perm_b32 v220, v49, v48, s52                             // 00000000A1D8: D1ED00DC 00D26131
	v_cmp_u_f32_e64 s[48:49], v234, v234                       // 00000000A1E0: D0480030 0003D5EA
	v_add3_u32 v44, v234, v47, 1                               // 00000000A1E8: D1FF002C 02065FEA
	v_cndmask_b32_e64 v48, v44, v46, s[48:49]                  // 00000000A1F0: D1000030 00C25D2C
	v_cmp_u_f32_e64 s[48:49], v235, v235                       // 00000000A1F8: D0480030 0003D7EB
	v_add3_u32 v44, v235, v47, 1                               // 00000000A200: D1FF002C 02065FEB
	v_cndmask_b32_e64 v49, v44, v46, s[48:49]                  // 00000000A208: D1000031 00C25D2C
	v_perm_b32 v221, v49, v48, s52                             // 00000000A210: D1ED00DD 00D26131
	v_cmp_u_f32_e64 s[48:49], v236, v236                       // 00000000A218: D0480030 0003D9EC
	v_add3_u32 v44, v236, v47, 1                               // 00000000A220: D1FF002C 02065FEC
	v_cndmask_b32_e64 v48, v44, v46, s[48:49]                  // 00000000A228: D1000030 00C25D2C
	v_cmp_u_f32_e64 s[48:49], v237, v237                       // 00000000A230: D0480030 0003DBED
	v_add3_u32 v44, v237, v47, 1                               // 00000000A238: D1FF002C 02065FED
	v_cndmask_b32_e64 v49, v44, v46, s[48:49]                  // 00000000A240: D1000031 00C25D2C
	v_perm_b32 v222, v49, v48, s52                             // 00000000A248: D1ED00DE 00D26131
	v_cmp_u_f32_e64 s[48:49], v238, v238                       // 00000000A250: D0480030 0003DDEE
	v_add3_u32 v44, v238, v47, 1                               // 00000000A258: D1FF002C 02065FEE
	v_cndmask_b32_e64 v48, v44, v46, s[48:49]                  // 00000000A260: D1000030 00C25D2C
	v_cmp_u_f32_e64 s[48:49], v239, v239                       // 00000000A268: D0480030 0003DFEF
	v_add3_u32 v44, v239, v47, 1                               // 00000000A270: D1FF002C 02065FEF
	v_cndmask_b32_e64 v49, v44, v46, s[48:49]                  // 00000000A278: D1000031 00C25D2C
	v_perm_b32 v223, v49, v48, s52                             // 00000000A280: D1ED00DF 00D26131
	ds_write_b64 v3, v[208:209] offset:30976                   // 00000000A288: D89A7900 0000D003
	ds_write_b64 v3, v[210:211] offset:39680                   // 00000000A290: D89A9B00 0000D203
	ds_write_b64 v3, v[212:213] offset:33152                   // 00000000A298: D89A8180 0000D403
	ds_write_b64 v3, v[214:215] offset:41856                   // 00000000A2A0: D89AA380 0000D603
	ds_write_b64 v3, v[216:217] offset:35328                   // 00000000A2A8: D89A8A00 0000D803
	ds_write_b64 v3, v[218:219] offset:44032                   // 00000000A2B0: D89AAC00 0000DA03
	ds_write_b64 v3, v[220:221] offset:37504                   // 00000000A2B8: D89A9280 0000DC03
	ds_write_b64 v3, v[222:223] offset:46208                   // 00000000A2C0: D89AB480 0000DE03
	s_waitcnt lgkmcnt(0)                                       // 00000000A2C8: BF8CC07F
	s_barrier                                                  // 00000000A2CC: BF8A0000
	ds_read_b32 v64, v4 offset:30976                           // 00000000A2D0: D86C7900 40000004
	ds_read_b32 v65, v4 offset:35328                           // 00000000A2D8: D86C8A00 41000004
	ds_read_b32 v66, v4 offset:31008                           // 00000000A2E0: D86C7920 42000004
	ds_read_b32 v67, v4 offset:35360                           // 00000000A2E8: D86C8A20 43000004
	ds_read_b32 v68, v4 offset:31040                           // 00000000A2F0: D86C7940 44000004
	ds_read_b32 v69, v4 offset:35392                           // 00000000A2F8: D86C8A40 45000004
	ds_read_b32 v70, v4 offset:31072                           // 00000000A300: D86C7960 46000004
	ds_read_b32 v71, v4 offset:35424                           // 00000000A308: D86C8A60 47000004
	ds_read_b32 v72, v4 offset:39680                           // 00000000A310: D86C9B00 48000004
	ds_read_b32 v73, v4 offset:44032                           // 00000000A318: D86CAC00 49000004
	ds_read_b32 v74, v4 offset:39712                           // 00000000A320: D86C9B20 4A000004
	ds_read_b32 v75, v4 offset:44064                           // 00000000A328: D86CAC20 4B000004
	ds_read_b32 v76, v4 offset:39744                           // 00000000A330: D86C9B40 4C000004
	ds_read_b32 v77, v4 offset:44096                           // 00000000A338: D86CAC40 4D000004
	ds_read_b32 v78, v4 offset:39776                           // 00000000A340: D86C9B60 4E000004
	ds_read_b32 v79, v4 offset:44128                           // 00000000A348: D86CAC60 4F000004
	s_waitcnt lgkmcnt(0)                                       // 00000000A350: BF8CC07F
	s_mov_b64 exec, s[20:21]                                   // 00000000A354: BEFE0114
	global_atomic_pk_add_f16 v80, v64, s[8:9]                  // 00000000A358: DD388000 00084050
	s_mov_b64 exec, s[36:37]                                   // 00000000A360: BEFE0124
	s_mov_b64 exec, s[20:21]                                   // 00000000A364: BEFE0114
	global_atomic_pk_add_f16 v80, v65, s[8:9] offset:256       // 00000000A368: DD388100 00084150
	s_mov_b64 exec, s[36:37]                                   // 00000000A370: BEFE0124
	s_mov_b64 exec, s[22:23]                                   // 00000000A374: BEFE0116
	global_atomic_pk_add_f16 v82, v66, s[8:9]                  // 00000000A378: DD388000 00084252
	s_mov_b64 exec, s[36:37]                                   // 00000000A380: BEFE0124
	s_mov_b64 exec, s[22:23]                                   // 00000000A384: BEFE0116
	global_atomic_pk_add_f16 v82, v67, s[8:9] offset:256       // 00000000A388: DD388100 00084352
	s_mov_b64 exec, s[36:37]                                   // 00000000A390: BEFE0124
	s_mov_b64 exec, s[24:25]                                   // 00000000A394: BEFE0118
	global_atomic_pk_add_f16 v84, v68, s[8:9]                  // 00000000A398: DD388000 00084454
	s_mov_b64 exec, s[36:37]                                   // 00000000A3A0: BEFE0124
	s_mov_b64 exec, s[24:25]                                   // 00000000A3A4: BEFE0118
	global_atomic_pk_add_f16 v84, v69, s[8:9] offset:256       // 00000000A3A8: DD388100 00084554
	s_mov_b64 exec, s[36:37]                                   // 00000000A3B0: BEFE0124
	s_mov_b64 exec, s[26:27]                                   // 00000000A3B4: BEFE011A
	global_atomic_pk_add_f16 v86, v70, s[8:9]                  // 00000000A3B8: DD388000 00084656
	s_mov_b64 exec, s[36:37]                                   // 00000000A3C0: BEFE0124
	s_mov_b64 exec, s[26:27]                                   // 00000000A3C4: BEFE011A
	global_atomic_pk_add_f16 v86, v71, s[8:9] offset:256       // 00000000A3C8: DD388100 00084756
	s_mov_b64 exec, s[36:37]                                   // 00000000A3D0: BEFE0124
	s_mov_b64 exec, s[28:29]                                   // 00000000A3D4: BEFE011C
	global_atomic_pk_add_f16 v88, v72, s[8:9]                  // 00000000A3D8: DD388000 00084858
	s_mov_b64 exec, s[36:37]                                   // 00000000A3E0: BEFE0124
	s_mov_b64 exec, s[28:29]                                   // 00000000A3E4: BEFE011C
	global_atomic_pk_add_f16 v88, v73, s[8:9] offset:256       // 00000000A3E8: DD388100 00084958
	s_mov_b64 exec, s[36:37]                                   // 00000000A3F0: BEFE0124
	s_mov_b64 exec, s[30:31]                                   // 00000000A3F4: BEFE011E
	global_atomic_pk_add_f16 v90, v74, s[8:9]                  // 00000000A3F8: DD388000 00084A5A
	s_mov_b64 exec, s[36:37]                                   // 00000000A400: BEFE0124
	s_mov_b64 exec, s[30:31]                                   // 00000000A404: BEFE011E
	global_atomic_pk_add_f16 v90, v75, s[8:9] offset:256       // 00000000A408: DD388100 00084B5A
	s_mov_b64 exec, s[36:37]                                   // 00000000A410: BEFE0124
	s_mov_b64 exec, s[32:33]                                   // 00000000A414: BEFE0120
	global_atomic_pk_add_f16 v92, v76, s[8:9]                  // 00000000A418: DD388000 00084C5C
	s_mov_b64 exec, s[36:37]                                   // 00000000A420: BEFE0124
	s_mov_b64 exec, s[32:33]                                   // 00000000A424: BEFE0120
	global_atomic_pk_add_f16 v92, v77, s[8:9] offset:256       // 00000000A428: DD388100 00084D5C
	s_mov_b64 exec, s[36:37]                                   // 00000000A430: BEFE0124
	s_mov_b64 exec, s[34:35]                                   // 00000000A434: BEFE0122
	global_atomic_pk_add_f16 v94, v78, s[8:9]                  // 00000000A438: DD388000 00084E5E
	s_mov_b64 exec, s[36:37]                                   // 00000000A440: BEFE0124
	s_mov_b64 exec, s[34:35]                                   // 00000000A444: BEFE0122
	global_atomic_pk_add_f16 v94, v79, s[8:9] offset:256       // 00000000A448: DD388100 00084F5E
	s_mov_b64 exec, s[36:37]                                   // 00000000A450: BEFE0124
	s_add_u32 s8, s59, s8                                      // 00000000A454: 8008083B
	s_addc_u32 s9, 0, s9                                       // 00000000A458: 82090980
	s_addk_i32 s80, 0x100                                      // 00000000A45C: B7500100
	s_cmp_lt_i32 s80, s81                                      // 00000000A460: BF045150
	s_cbranch_scc0 label_100D                                  // 00000000A464: BF84F273
	s_branch label_1790                                        // 00000000A468: BF82F9F5

000000000000a46c <label_1D9B>:
	s_waitcnt vmcnt(0) expcnt(0) lgkmcnt(0)                    // 00000000A46C: BF8C0000
	s_endpgm                                                   // 00000000A470: BF810000
